;; amdgpu-corpus repo=zjin-lcf/HeCBench kind=compiled arch=gfx1250 opt=O3
	.amdgcn_target "amdgcn-amd-amdhsa--gfx1250"
	.amdhsa_code_object_version 6
	.section	.text._Z20BlockPrefixSumKernelILi1024ELi1ELN6hipcub16HIPCUB_304000_NS18BlockScanAlgorithmE1EEvPKiPi,"axG",@progbits,_Z20BlockPrefixSumKernelILi1024ELi1ELN6hipcub16HIPCUB_304000_NS18BlockScanAlgorithmE1EEvPKiPi,comdat
	.protected	_Z20BlockPrefixSumKernelILi1024ELi1ELN6hipcub16HIPCUB_304000_NS18BlockScanAlgorithmE1EEvPKiPi ; -- Begin function _Z20BlockPrefixSumKernelILi1024ELi1ELN6hipcub16HIPCUB_304000_NS18BlockScanAlgorithmE1EEvPKiPi
	.globl	_Z20BlockPrefixSumKernelILi1024ELi1ELN6hipcub16HIPCUB_304000_NS18BlockScanAlgorithmE1EEvPKiPi
	.p2align	8
	.type	_Z20BlockPrefixSumKernelILi1024ELi1ELN6hipcub16HIPCUB_304000_NS18BlockScanAlgorithmE1EEvPKiPi,@function
_Z20BlockPrefixSumKernelILi1024ELi1ELN6hipcub16HIPCUB_304000_NS18BlockScanAlgorithmE1EEvPKiPi: ; @_Z20BlockPrefixSumKernelILi1024ELi1ELN6hipcub16HIPCUB_304000_NS18BlockScanAlgorithmE1EEvPKiPi
; %bb.0:
	s_load_b128 s[0:3], s[0:1], 0x0
	v_mbcnt_lo_u32_b32 v6, -1, 0
	v_mov_b32_e32 v5, 0
	v_and_b32_e32 v1, 0x3e0, v0
	s_delay_alu instid0(VALU_DEP_3) | instskip(NEXT) | instid1(VALU_DEP_2)
	v_dual_lshrrev_b32 v7, 3, v0 :: v_dual_lshlrev_b32 v2, 2, v6
	v_dual_mov_b32 v3, v5 :: v_dual_lshlrev_b32 v4, 2, v1
	s_delay_alu instid0(VALU_DEP_2) | instskip(NEXT) | instid1(VALU_DEP_2)
	v_and_b32_e32 v7, 0x7c, v7
	v_or_b32_e32 v1, v2, v4
	s_delay_alu instid0(VALU_DEP_2) | instskip(SKIP_3) | instid1(VALU_DEP_1)
	v_lshl_add_u32 v7, v0, 2, v7
	s_wait_kmcnt 0x0
	v_add_nc_u64_e32 v[8:9], s[0:1], v[2:3]
	s_mov_b32 s0, exec_lo
	v_add_nc_u64_e32 v[8:9], v[8:9], v[4:5]
	global_load_b32 v3, v[8:9], off
	s_wait_loadcnt 0x0
	ds_store_b32 v1, v3
	; wave barrier
	ds_load_b32 v3, v1
	s_wait_dscnt 0x0
	s_barrier_signal -1
	s_barrier_wait -1
	ds_store_b32 v7, v3
	s_wait_dscnt 0x0
	s_barrier_signal -1
	s_barrier_wait -1
	v_cmpx_gt_u32_e32 32, v0
	s_cbranch_execz .LBB0_2
; %bb.1:
	v_mul_u32_u24_e32 v20, 0x84, v0
	ds_load_2addr_b32 v[8:9], v20 offset1:1
	ds_load_2addr_b32 v[10:11], v20 offset0:2 offset1:3
	ds_load_2addr_b32 v[12:13], v20 offset0:4 offset1:5
	;; [unrolled: 1-line block ×5, first 2 shown]
	s_wait_dscnt 0x5
	v_dual_add_nc_u32 v7, v9, v8 :: v_dual_bitop2_b32 v9, 15, v6 bitop3:0x40
	s_wait_dscnt 0x4
	s_delay_alu instid0(VALU_DEP_1)
	v_add3_u32 v7, v7, v10, v11
	ds_load_2addr_b32 v[10:11], v20 offset0:12 offset1:13
	v_cmp_ne_u32_e32 vcc_lo, 0, v9
	s_wait_dscnt 0x4
	v_add3_u32 v7, v7, v12, v13
	ds_load_2addr_b32 v[12:13], v20 offset0:14 offset1:15
	s_wait_dscnt 0x4
	v_add3_u32 v7, v7, v14, v15
	ds_load_2addr_b32 v[14:15], v20 offset0:16 offset1:17
	s_wait_dscnt 0x4
	v_add3_u32 v7, v7, v16, v17
	s_wait_dscnt 0x3
	s_delay_alu instid0(VALU_DEP_1)
	v_add3_u32 v7, v7, v18, v19
	ds_load_2addr_b32 v[16:17], v20 offset0:18 offset1:19
	ds_load_2addr_b32 v[18:19], v20 offset0:20 offset1:21
	s_wait_dscnt 0x4
	v_add3_u32 v7, v7, v10, v11
	ds_load_2addr_b32 v[10:11], v20 offset0:22 offset1:23
	s_wait_dscnt 0x4
	v_add3_u32 v7, v7, v12, v13
	;; [unrolled: 3-line block ×4, first 2 shown]
	s_wait_dscnt 0x3
	s_delay_alu instid0(VALU_DEP_1)
	v_add3_u32 v7, v7, v18, v19
	ds_load_2addr_b32 v[16:17], v20 offset0:28 offset1:29
	ds_load_2addr_b32 v[18:19], v20 offset0:30 offset1:31
	; wave barrier
	s_wait_dscnt 0x4
	v_add3_u32 v7, v7, v10, v11
	v_bfe_i32 v11, v6, 4, 1
	s_wait_dscnt 0x3
	s_delay_alu instid0(VALU_DEP_2) | instskip(SKIP_1) | instid1(VALU_DEP_1)
	v_add3_u32 v7, v7, v12, v13
	s_wait_dscnt 0x2
	v_add3_u32 v7, v7, v14, v15
	s_wait_dscnt 0x1
	s_delay_alu instid0(VALU_DEP_1) | instskip(SKIP_1) | instid1(VALU_DEP_1)
	v_add3_u32 v7, v7, v16, v17
	s_wait_dscnt 0x0
	v_add3_u32 v7, v7, v18, v19
	s_delay_alu instid0(VALU_DEP_1) | instskip(NEXT) | instid1(VALU_DEP_1)
	v_mov_b32_dpp v10, v7 row_shr:1 row_mask:0xf bank_mask:0xf
	v_cndmask_b32_e32 v10, 0, v10, vcc_lo
	v_cmp_lt_u32_e32 vcc_lo, 1, v9
	s_delay_alu instid0(VALU_DEP_2) | instskip(NEXT) | instid1(VALU_DEP_1)
	v_add_nc_u32_e32 v7, v10, v7
	v_mov_b32_dpp v10, v7 row_shr:2 row_mask:0xf bank_mask:0xf
	s_delay_alu instid0(VALU_DEP_1) | instskip(SKIP_1) | instid1(VALU_DEP_2)
	v_cndmask_b32_e32 v10, 0, v10, vcc_lo
	v_cmp_lt_u32_e32 vcc_lo, 3, v9
	v_add_nc_u32_e32 v7, v7, v10
	s_delay_alu instid0(VALU_DEP_1) | instskip(NEXT) | instid1(VALU_DEP_1)
	v_mov_b32_dpp v10, v7 row_shr:4 row_mask:0xf bank_mask:0xf
	v_cndmask_b32_e32 v10, 0, v10, vcc_lo
	v_cmp_lt_u32_e32 vcc_lo, 7, v9
	s_delay_alu instid0(VALU_DEP_2) | instskip(NEXT) | instid1(VALU_DEP_1)
	v_add_nc_u32_e32 v7, v7, v10
	v_mov_b32_dpp v10, v7 row_shr:8 row_mask:0xf bank_mask:0xf
	s_delay_alu instid0(VALU_DEP_1) | instskip(NEXT) | instid1(VALU_DEP_1)
	v_cndmask_b32_e32 v9, 0, v10, vcc_lo
	v_add_nc_u32_e32 v7, v7, v9
	ds_swizzle_b32 v9, v7 offset:swizzle(BROADCAST,32,15)
	s_wait_dscnt 0x0
	v_dual_add_nc_u32 v10, -1, v6 :: v_dual_bitop2_b32 v9, v11, v9 bitop3:0x40
	s_delay_alu instid0(VALU_DEP_1) | instskip(NEXT) | instid1(VALU_DEP_2)
	v_cmp_gt_i32_e32 vcc_lo, 0, v10
	v_dual_cndmask_b32 v6, v10, v6 :: v_dual_add_nc_u32 v7, v7, v9
	v_cmp_eq_u32_e32 vcc_lo, 0, v0
	s_delay_alu instid0(VALU_DEP_2) | instskip(SKIP_3) | instid1(VALU_DEP_1)
	v_lshlrev_b32_e32 v6, 2, v6
	ds_bpermute_b32 v6, v6, v7
	s_wait_dscnt 0x0
	v_add_nc_u32_e32 v6, v6, v8
	v_cndmask_b32_e32 v3, v6, v3, vcc_lo
	ds_store_b32 v20, v3
	; wave barrier
	ds_load_2addr_b32 v[6:7], v20 offset0:1 offset1:2
	ds_load_2addr_b32 v[8:9], v20 offset0:3 offset1:4
	;; [unrolled: 1-line block ×4, first 2 shown]
	s_wait_dscnt 0x3
	v_add_nc_u32_e32 v3, v6, v3
	s_delay_alu instid0(VALU_DEP_1) | instskip(SKIP_3) | instid1(VALU_DEP_1)
	v_add_nc_u32_e32 v14, v7, v3
	ds_load_2addr_b32 v[6:7], v20 offset0:9 offset1:10
	s_wait_dscnt 0x3
	v_add_nc_u32_e32 v15, v8, v14
	v_add_nc_u32_e32 v16, v9, v15
	ds_load_2addr_b32 v[8:9], v20 offset0:11 offset1:12
	s_wait_dscnt 0x3
	v_add_nc_u32_e32 v17, v10, v16
	s_delay_alu instid0(VALU_DEP_1) | instskip(SKIP_1) | instid1(VALU_DEP_1)
	v_add_nc_u32_e32 v18, v11, v17
	s_wait_dscnt 0x2
	v_add_nc_u32_e32 v19, v12, v18
	s_delay_alu instid0(VALU_DEP_1) | instskip(SKIP_4) | instid1(VALU_DEP_1)
	v_add_nc_u32_e32 v21, v13, v19
	ds_load_2addr_b32 v[10:11], v20 offset0:13 offset1:14
	ds_load_2addr_b32 v[12:13], v20 offset0:15 offset1:16
	s_wait_dscnt 0x3
	v_add_nc_u32_e32 v22, v6, v21
	v_add_nc_u32_e32 v23, v7, v22
	ds_load_2addr_b32 v[6:7], v20 offset0:17 offset1:18
	s_wait_dscnt 0x3
	v_add_nc_u32_e32 v24, v8, v23
	s_delay_alu instid0(VALU_DEP_1) | instskip(SKIP_3) | instid1(VALU_DEP_1)
	v_add_nc_u32_e32 v25, v9, v24
	ds_load_2addr_b32 v[8:9], v20 offset0:19 offset1:20
	s_wait_dscnt 0x3
	v_add_nc_u32_e32 v26, v10, v25
	v_add_nc_u32_e32 v27, v11, v26
	s_wait_dscnt 0x2
	s_delay_alu instid0(VALU_DEP_1) | instskip(NEXT) | instid1(VALU_DEP_1)
	v_add_nc_u32_e32 v28, v12, v27
	v_add_nc_u32_e32 v29, v13, v28
	ds_load_2addr_b32 v[10:11], v20 offset0:21 offset1:22
	ds_load_2addr_b32 v[12:13], v20 offset0:23 offset1:24
	s_wait_dscnt 0x3
	v_add_nc_u32_e32 v30, v6, v29
	s_delay_alu instid0(VALU_DEP_1) | instskip(SKIP_3) | instid1(VALU_DEP_1)
	v_add_nc_u32_e32 v31, v7, v30
	ds_load_2addr_b32 v[6:7], v20 offset0:25 offset1:26
	s_wait_dscnt 0x3
	v_add_nc_u32_e32 v32, v8, v31
	v_add_nc_u32_e32 v33, v9, v32
	ds_load_2addr_b32 v[8:9], v20 offset0:27 offset1:28
	s_wait_dscnt 0x3
	v_add_nc_u32_e32 v34, v10, v33
	s_delay_alu instid0(VALU_DEP_1)
	v_add_nc_u32_e32 v35, v11, v34
	ds_load_2addr_b32 v[10:11], v20 offset0:29 offset1:30
	ds_load_b32 v36, v20 offset:124
	ds_store_2addr_b32 v20, v3, v14 offset0:1 offset1:2
	ds_store_2addr_b32 v20, v15, v16 offset0:3 offset1:4
	;; [unrolled: 1-line block ×8, first 2 shown]
	s_wait_dscnt 0xc
	v_add_nc_u32_e32 v12, v12, v35
	s_delay_alu instid0(VALU_DEP_1) | instskip(SKIP_1) | instid1(VALU_DEP_1)
	v_add_nc_u32_e32 v13, v13, v12
	s_wait_dscnt 0xb
	v_add_nc_u32_e32 v6, v6, v13
	s_delay_alu instid0(VALU_DEP_1) | instskip(SKIP_1) | instid1(VALU_DEP_1)
	v_add_nc_u32_e32 v7, v7, v6
	;; [unrolled: 4-line block ×4, first 2 shown]
	s_wait_dscnt 0x8
	v_add_nc_u32_e32 v11, v36, v3
	ds_store_2addr_b32 v20, v30, v31 offset0:17 offset1:18
	ds_store_2addr_b32 v20, v32, v33 offset0:19 offset1:20
	;; [unrolled: 1-line block ×7, first 2 shown]
	ds_store_b32 v20, v11 offset:124
.LBB0_2:
	s_or_b32 exec_lo, exec_lo, s0
	s_delay_alu instid0(SALU_CYCLE_1)
	s_mov_b32 s1, exec_lo
	v_cmp_eq_u32_e32 vcc_lo, 0, v0
	s_wait_dscnt 0x0
	s_barrier_signal -1
	s_barrier_wait -1
	v_cmpx_ne_u32_e32 0, v0
	s_cbranch_execz .LBB0_4
; %bb.3:
	v_add_nc_u32_e32 v0, -1, v0
	s_delay_alu instid0(VALU_DEP_1) | instskip(NEXT) | instid1(VALU_DEP_1)
	v_lshrrev_b32_e32 v3, 3, v0
	v_and_b32_e32 v3, 0x1ffffffc, v3
	s_delay_alu instid0(VALU_DEP_1)
	v_lshl_add_u32 v0, v0, 2, v3
	ds_load_b32 v5, v0
.LBB0_4:
	s_or_b32 exec_lo, exec_lo, s1
	v_mov_b32_e32 v3, 0
	ds_load_b32 v0, v3 offset:4216
	s_wait_dscnt 0x0
	s_barrier_signal -1
	s_barrier_wait -1
	ds_store_b32 v1, v5
	; wave barrier
	ds_load_b32 v1, v1
	v_add_nc_u64_e32 v[6:7], s[2:3], v[2:3]
	v_mov_b32_e32 v5, v3
	s_delay_alu instid0(VALU_DEP_1)
	v_add_nc_u64_e32 v[4:5], v[6:7], v[4:5]
	s_wait_dscnt 0x0
	global_store_b32 v[4:5], v1, off
	s_wait_xcnt 0x0
	s_and_saveexec_b32 s0, vcc_lo
	s_cbranch_execz .LBB0_6
; %bb.5:
	global_store_b32 v3, v0, s[2:3] offset:4096
.LBB0_6:
	s_endpgm
	.section	.rodata,"a",@progbits
	.p2align	6, 0x0
	.amdhsa_kernel _Z20BlockPrefixSumKernelILi1024ELi1ELN6hipcub16HIPCUB_304000_NS18BlockScanAlgorithmE1EEvPKiPi
		.amdhsa_group_segment_fixed_size 4224
		.amdhsa_private_segment_fixed_size 0
		.amdhsa_kernarg_size 16
		.amdhsa_user_sgpr_count 2
		.amdhsa_user_sgpr_dispatch_ptr 0
		.amdhsa_user_sgpr_queue_ptr 0
		.amdhsa_user_sgpr_kernarg_segment_ptr 1
		.amdhsa_user_sgpr_dispatch_id 0
		.amdhsa_user_sgpr_kernarg_preload_length 0
		.amdhsa_user_sgpr_kernarg_preload_offset 0
		.amdhsa_user_sgpr_private_segment_size 0
		.amdhsa_wavefront_size32 1
		.amdhsa_uses_dynamic_stack 0
		.amdhsa_enable_private_segment 0
		.amdhsa_system_sgpr_workgroup_id_x 1
		.amdhsa_system_sgpr_workgroup_id_y 0
		.amdhsa_system_sgpr_workgroup_id_z 0
		.amdhsa_system_sgpr_workgroup_info 0
		.amdhsa_system_vgpr_workitem_id 0
		.amdhsa_next_free_vgpr 37
		.amdhsa_next_free_sgpr 4
		.amdhsa_named_barrier_count 0
		.amdhsa_reserve_vcc 1
		.amdhsa_float_round_mode_32 0
		.amdhsa_float_round_mode_16_64 0
		.amdhsa_float_denorm_mode_32 3
		.amdhsa_float_denorm_mode_16_64 3
		.amdhsa_fp16_overflow 0
		.amdhsa_memory_ordered 1
		.amdhsa_forward_progress 1
		.amdhsa_inst_pref_size 11
		.amdhsa_round_robin_scheduling 0
		.amdhsa_exception_fp_ieee_invalid_op 0
		.amdhsa_exception_fp_denorm_src 0
		.amdhsa_exception_fp_ieee_div_zero 0
		.amdhsa_exception_fp_ieee_overflow 0
		.amdhsa_exception_fp_ieee_underflow 0
		.amdhsa_exception_fp_ieee_inexact 0
		.amdhsa_exception_int_div_zero 0
	.end_amdhsa_kernel
	.section	.text._Z20BlockPrefixSumKernelILi1024ELi1ELN6hipcub16HIPCUB_304000_NS18BlockScanAlgorithmE1EEvPKiPi,"axG",@progbits,_Z20BlockPrefixSumKernelILi1024ELi1ELN6hipcub16HIPCUB_304000_NS18BlockScanAlgorithmE1EEvPKiPi,comdat
.Lfunc_end0:
	.size	_Z20BlockPrefixSumKernelILi1024ELi1ELN6hipcub16HIPCUB_304000_NS18BlockScanAlgorithmE1EEvPKiPi, .Lfunc_end0-_Z20BlockPrefixSumKernelILi1024ELi1ELN6hipcub16HIPCUB_304000_NS18BlockScanAlgorithmE1EEvPKiPi
                                        ; -- End function
	.set _Z20BlockPrefixSumKernelILi1024ELi1ELN6hipcub16HIPCUB_304000_NS18BlockScanAlgorithmE1EEvPKiPi.num_vgpr, 37
	.set _Z20BlockPrefixSumKernelILi1024ELi1ELN6hipcub16HIPCUB_304000_NS18BlockScanAlgorithmE1EEvPKiPi.num_agpr, 0
	.set _Z20BlockPrefixSumKernelILi1024ELi1ELN6hipcub16HIPCUB_304000_NS18BlockScanAlgorithmE1EEvPKiPi.numbered_sgpr, 4
	.set _Z20BlockPrefixSumKernelILi1024ELi1ELN6hipcub16HIPCUB_304000_NS18BlockScanAlgorithmE1EEvPKiPi.num_named_barrier, 0
	.set _Z20BlockPrefixSumKernelILi1024ELi1ELN6hipcub16HIPCUB_304000_NS18BlockScanAlgorithmE1EEvPKiPi.private_seg_size, 0
	.set _Z20BlockPrefixSumKernelILi1024ELi1ELN6hipcub16HIPCUB_304000_NS18BlockScanAlgorithmE1EEvPKiPi.uses_vcc, 1
	.set _Z20BlockPrefixSumKernelILi1024ELi1ELN6hipcub16HIPCUB_304000_NS18BlockScanAlgorithmE1EEvPKiPi.uses_flat_scratch, 0
	.set _Z20BlockPrefixSumKernelILi1024ELi1ELN6hipcub16HIPCUB_304000_NS18BlockScanAlgorithmE1EEvPKiPi.has_dyn_sized_stack, 0
	.set _Z20BlockPrefixSumKernelILi1024ELi1ELN6hipcub16HIPCUB_304000_NS18BlockScanAlgorithmE1EEvPKiPi.has_recursion, 0
	.set _Z20BlockPrefixSumKernelILi1024ELi1ELN6hipcub16HIPCUB_304000_NS18BlockScanAlgorithmE1EEvPKiPi.has_indirect_call, 0
	.section	.AMDGPU.csdata,"",@progbits
; Kernel info:
; codeLenInByte = 1380
; TotalNumSgprs: 6
; NumVgprs: 37
; ScratchSize: 0
; MemoryBound: 0
; FloatMode: 240
; IeeeMode: 1
; LDSByteSize: 4224 bytes/workgroup (compile time only)
; SGPRBlocks: 0
; VGPRBlocks: 2
; NumSGPRsForWavesPerEU: 6
; NumVGPRsForWavesPerEU: 37
; NamedBarCnt: 0
; Occupancy: 16
; WaveLimiterHint : 0
; COMPUTE_PGM_RSRC2:SCRATCH_EN: 0
; COMPUTE_PGM_RSRC2:USER_SGPR: 2
; COMPUTE_PGM_RSRC2:TRAP_HANDLER: 0
; COMPUTE_PGM_RSRC2:TGID_X_EN: 1
; COMPUTE_PGM_RSRC2:TGID_Y_EN: 0
; COMPUTE_PGM_RSRC2:TGID_Z_EN: 0
; COMPUTE_PGM_RSRC2:TIDIG_COMP_CNT: 0
	.section	.text._Z20BlockPrefixSumKernelILi512ELi2ELN6hipcub16HIPCUB_304000_NS18BlockScanAlgorithmE1EEvPKiPi,"axG",@progbits,_Z20BlockPrefixSumKernelILi512ELi2ELN6hipcub16HIPCUB_304000_NS18BlockScanAlgorithmE1EEvPKiPi,comdat
	.protected	_Z20BlockPrefixSumKernelILi512ELi2ELN6hipcub16HIPCUB_304000_NS18BlockScanAlgorithmE1EEvPKiPi ; -- Begin function _Z20BlockPrefixSumKernelILi512ELi2ELN6hipcub16HIPCUB_304000_NS18BlockScanAlgorithmE1EEvPKiPi
	.globl	_Z20BlockPrefixSumKernelILi512ELi2ELN6hipcub16HIPCUB_304000_NS18BlockScanAlgorithmE1EEvPKiPi
	.p2align	8
	.type	_Z20BlockPrefixSumKernelILi512ELi2ELN6hipcub16HIPCUB_304000_NS18BlockScanAlgorithmE1EEvPKiPi,@function
_Z20BlockPrefixSumKernelILi512ELi2ELN6hipcub16HIPCUB_304000_NS18BlockScanAlgorithmE1EEvPKiPi: ; @_Z20BlockPrefixSumKernelILi512ELi2ELN6hipcub16HIPCUB_304000_NS18BlockScanAlgorithmE1EEvPKiPi
; %bb.0:
	s_load_b128 s[0:3], s[0:1], 0x0
	v_mbcnt_lo_u32_b32 v10, -1, 0
	v_dual_mov_b32 v5, 0 :: v_dual_lshlrev_b32 v11, 1, v0
	s_delay_alu instid0(VALU_DEP_1) | instskip(NEXT) | instid1(VALU_DEP_2)
	v_dual_mov_b32 v3, v5 :: v_dual_lshlrev_b32 v2, 2, v10
	v_and_b32_e32 v1, 0x7c0, v11
	v_and_or_b32 v8, 0x3e0, v0, v10
	s_delay_alu instid0(VALU_DEP_2) | instskip(NEXT) | instid1(VALU_DEP_2)
	v_lshlrev_b32_e32 v4, 2, v1
	v_bfe_u32 v13, v8, 4, 27
	s_wait_kmcnt 0x0
	v_add_nc_u64_e32 v[6:7], s[0:1], v[2:3]
	s_mov_b32 s0, exec_lo
	s_delay_alu instid0(VALU_DEP_1)
	v_add_nc_u64_e32 v[6:7], v[6:7], v[4:5]
	s_clause 0x1
	global_load_b32 v3, v[6:7], off
	global_load_b32 v12, v[6:7], off offset:128
	s_wait_xcnt 0x0
	v_or_b32_e32 v6, v10, v1
	v_dual_lshrrev_b32 v1, 3, v1 :: v_dual_bitop2_b32 v7, 32, v1 bitop3:0x54
	s_delay_alu instid0(VALU_DEP_1) | instskip(NEXT) | instid1(VALU_DEP_1)
	v_dual_lshlrev_b32 v6, 2, v6 :: v_dual_lshrrev_b32 v7, 3, v7
	v_dual_lshlrev_b32 v9, 1, v8 :: v_dual_add_nc_u32 v1, v1, v6
	s_delay_alu instid0(VALU_DEP_2) | instskip(NEXT) | instid1(VALU_DEP_2)
	v_add_nc_u32_e32 v8, v7, v6
	v_add_lshl_u32 v9, v13, v9, 2
	s_wait_loadcnt 0x1
	ds_store_b32 v1, v3
	s_wait_loadcnt 0x0
	ds_store_b32 v8, v12 offset:128
	; wave barrier
	ds_load_2addr_b32 v[6:7], v9 offset1:1
	v_lshrrev_b32_e32 v3, 3, v0
	s_wait_dscnt 0x0
	s_barrier_signal -1
	s_barrier_wait -1
	s_delay_alu instid0(VALU_DEP_1) | instskip(NEXT) | instid1(VALU_DEP_1)
	v_and_b32_e32 v3, 0x7c, v3
	v_lshl_add_u32 v12, v0, 2, v3
	v_add_nc_u32_e32 v3, v7, v6
	ds_store_b32 v12, v3
	s_wait_dscnt 0x0
	s_barrier_signal -1
	s_barrier_wait -1
	v_cmpx_gt_u32_e32 32, v0
	s_cbranch_execz .LBB1_2
; %bb.1:
	v_and_b32_e32 v7, 0x7fc, v11
	s_delay_alu instid0(VALU_DEP_1)
	v_lshl_add_u32 v7, v0, 6, v7
	ds_load_2addr_b32 v[12:13], v7 offset1:1
	ds_load_2addr_b32 v[14:15], v7 offset0:2 offset1:3
	ds_load_2addr_b32 v[16:17], v7 offset0:4 offset1:5
	;; [unrolled: 1-line block ×4, first 2 shown]
	s_wait_dscnt 0x4
	v_dual_add_nc_u32 v11, v13, v12 :: v_dual_bitop2_b32 v13, 15, v10 bitop3:0x40
	s_wait_dscnt 0x3
	s_delay_alu instid0(VALU_DEP_1)
	v_add3_u32 v11, v11, v14, v15
	ds_load_2addr_b32 v[14:15], v7 offset0:10 offset1:11
	v_cmp_ne_u32_e32 vcc_lo, 0, v13
	s_wait_dscnt 0x3
	v_add3_u32 v11, v11, v16, v17
	ds_load_2addr_b32 v[16:17], v7 offset0:12 offset1:13
	ds_load_2addr_b32 v[22:23], v7 offset0:14 offset1:15
	; wave barrier
	s_wait_dscnt 0x4
	v_add3_u32 v11, v11, v18, v19
	s_wait_dscnt 0x3
	s_delay_alu instid0(VALU_DEP_1) | instskip(SKIP_1) | instid1(VALU_DEP_1)
	v_add3_u32 v11, v11, v20, v21
	s_wait_dscnt 0x2
	v_add3_u32 v11, v11, v14, v15
	v_bfe_i32 v15, v10, 4, 1
	s_wait_dscnt 0x1
	s_delay_alu instid0(VALU_DEP_2) | instskip(SKIP_1) | instid1(VALU_DEP_1)
	v_add3_u32 v11, v11, v16, v17
	s_wait_dscnt 0x0
	v_add3_u32 v11, v11, v22, v23
	s_delay_alu instid0(VALU_DEP_1) | instskip(NEXT) | instid1(VALU_DEP_1)
	v_mov_b32_dpp v14, v11 row_shr:1 row_mask:0xf bank_mask:0xf
	v_cndmask_b32_e32 v14, 0, v14, vcc_lo
	v_cmp_lt_u32_e32 vcc_lo, 1, v13
	s_delay_alu instid0(VALU_DEP_2) | instskip(NEXT) | instid1(VALU_DEP_1)
	v_add_nc_u32_e32 v11, v14, v11
	v_mov_b32_dpp v14, v11 row_shr:2 row_mask:0xf bank_mask:0xf
	s_delay_alu instid0(VALU_DEP_1) | instskip(SKIP_1) | instid1(VALU_DEP_2)
	v_cndmask_b32_e32 v14, 0, v14, vcc_lo
	v_cmp_lt_u32_e32 vcc_lo, 3, v13
	v_add_nc_u32_e32 v11, v11, v14
	s_delay_alu instid0(VALU_DEP_1) | instskip(NEXT) | instid1(VALU_DEP_1)
	v_mov_b32_dpp v14, v11 row_shr:4 row_mask:0xf bank_mask:0xf
	v_cndmask_b32_e32 v14, 0, v14, vcc_lo
	v_cmp_lt_u32_e32 vcc_lo, 7, v13
	s_delay_alu instid0(VALU_DEP_2) | instskip(NEXT) | instid1(VALU_DEP_1)
	v_add_nc_u32_e32 v11, v11, v14
	v_mov_b32_dpp v14, v11 row_shr:8 row_mask:0xf bank_mask:0xf
	s_delay_alu instid0(VALU_DEP_1) | instskip(NEXT) | instid1(VALU_DEP_1)
	v_cndmask_b32_e32 v13, 0, v14, vcc_lo
	v_add_nc_u32_e32 v11, v11, v13
	ds_swizzle_b32 v13, v11 offset:swizzle(BROADCAST,32,15)
	s_wait_dscnt 0x0
	v_dual_add_nc_u32 v14, -1, v10 :: v_dual_bitop2_b32 v13, v15, v13 bitop3:0x40
	s_delay_alu instid0(VALU_DEP_1) | instskip(NEXT) | instid1(VALU_DEP_2)
	v_cmp_gt_i32_e32 vcc_lo, 0, v14
	v_dual_cndmask_b32 v10, v14, v10 :: v_dual_add_nc_u32 v11, v11, v13
	v_cmp_eq_u32_e32 vcc_lo, 0, v0
	s_delay_alu instid0(VALU_DEP_2) | instskip(SKIP_3) | instid1(VALU_DEP_1)
	v_lshlrev_b32_e32 v10, 2, v10
	ds_bpermute_b32 v10, v10, v11
	s_wait_dscnt 0x0
	v_add_nc_u32_e32 v10, v10, v12
	v_cndmask_b32_e32 v3, v10, v3, vcc_lo
	ds_store_b32 v7, v3
	; wave barrier
	ds_load_2addr_b32 v[10:11], v7 offset0:1 offset1:2
	ds_load_2addr_b32 v[12:13], v7 offset0:3 offset1:4
	;; [unrolled: 1-line block ×4, first 2 shown]
	s_wait_dscnt 0x3
	v_add_nc_u32_e32 v3, v10, v3
	s_delay_alu instid0(VALU_DEP_1) | instskip(SKIP_3) | instid1(VALU_DEP_1)
	v_add_nc_u32_e32 v18, v11, v3
	ds_load_2addr_b32 v[10:11], v7 offset0:9 offset1:10
	s_wait_dscnt 0x3
	v_add_nc_u32_e32 v19, v12, v18
	v_add_nc_u32_e32 v20, v13, v19
	ds_load_2addr_b32 v[12:13], v7 offset0:11 offset1:12
	s_wait_dscnt 0x3
	v_add_nc_u32_e32 v21, v14, v20
	s_delay_alu instid0(VALU_DEP_1) | instskip(SKIP_4) | instid1(VALU_DEP_1)
	v_add_nc_u32_e32 v22, v15, v21
	ds_load_2addr_b32 v[14:15], v7 offset0:13 offset1:14
	ds_load_b32 v23, v7 offset:60
	s_wait_dscnt 0x4
	v_add_nc_u32_e32 v16, v16, v22
	v_add_nc_u32_e32 v17, v17, v16
	s_wait_dscnt 0x3
	s_delay_alu instid0(VALU_DEP_1) | instskip(NEXT) | instid1(VALU_DEP_1)
	v_add_nc_u32_e32 v10, v10, v17
	v_add_nc_u32_e32 v11, v11, v10
	s_wait_dscnt 0x2
	s_delay_alu instid0(VALU_DEP_1) | instskip(NEXT) | instid1(VALU_DEP_1)
	;; [unrolled: 4-line block ×3, first 2 shown]
	v_add_nc_u32_e32 v14, v14, v13
	v_add_nc_u32_e32 v15, v15, v14
	s_wait_dscnt 0x0
	s_delay_alu instid0(VALU_DEP_1)
	v_add_nc_u32_e32 v23, v23, v15
	ds_store_2addr_b32 v7, v3, v18 offset0:1 offset1:2
	ds_store_2addr_b32 v7, v19, v20 offset0:3 offset1:4
	;; [unrolled: 1-line block ×7, first 2 shown]
	ds_store_b32 v7, v23 offset:60
.LBB1_2:
	s_or_b32 exec_lo, exec_lo, s0
	s_delay_alu instid0(SALU_CYCLE_1)
	s_mov_b32 s1, exec_lo
	v_cmp_eq_u32_e32 vcc_lo, 0, v0
	s_wait_dscnt 0x0
	s_barrier_signal -1
	s_barrier_wait -1
	v_cmpx_ne_u32_e32 0, v0
	s_cbranch_execz .LBB1_4
; %bb.3:
	v_add_nc_u32_e32 v0, -1, v0
	s_delay_alu instid0(VALU_DEP_1) | instskip(NEXT) | instid1(VALU_DEP_1)
	v_lshrrev_b32_e32 v3, 3, v0
	v_and_b32_e32 v3, 0x1ffffffc, v3
	s_delay_alu instid0(VALU_DEP_1)
	v_lshl_add_u32 v0, v0, 2, v3
	ds_load_b32 v5, v0
.LBB1_4:
	s_or_b32 exec_lo, exec_lo, s1
	s_wait_dscnt 0x0
	v_dual_mov_b32 v3, 0 :: v_dual_add_nc_u32 v6, v5, v6
	ds_load_b32 v0, v3 offset:2104
	s_wait_dscnt 0x0
	s_barrier_signal -1
	s_barrier_wait -1
	ds_store_2addr_b32 v9, v5, v6 offset1:1
	; wave barrier
	ds_load_b32 v1, v1
	ds_load_b32 v8, v8 offset:128
	v_add_nc_u64_e32 v[6:7], s[2:3], v[2:3]
	v_mov_b32_e32 v5, v3
	s_delay_alu instid0(VALU_DEP_1)
	v_add_nc_u64_e32 v[4:5], v[6:7], v[4:5]
	s_wait_dscnt 0x1
	global_store_b32 v[4:5], v1, off
	s_wait_dscnt 0x0
	global_store_b32 v[4:5], v8, off offset:128
	s_wait_xcnt 0x0
	s_and_saveexec_b32 s0, vcc_lo
	s_cbranch_execz .LBB1_6
; %bb.5:
	global_store_b32 v3, v0, s[2:3] offset:4096
.LBB1_6:
	s_endpgm
	.section	.rodata,"a",@progbits
	.p2align	6, 0x0
	.amdhsa_kernel _Z20BlockPrefixSumKernelILi512ELi2ELN6hipcub16HIPCUB_304000_NS18BlockScanAlgorithmE1EEvPKiPi
		.amdhsa_group_segment_fixed_size 4224
		.amdhsa_private_segment_fixed_size 0
		.amdhsa_kernarg_size 16
		.amdhsa_user_sgpr_count 2
		.amdhsa_user_sgpr_dispatch_ptr 0
		.amdhsa_user_sgpr_queue_ptr 0
		.amdhsa_user_sgpr_kernarg_segment_ptr 1
		.amdhsa_user_sgpr_dispatch_id 0
		.amdhsa_user_sgpr_kernarg_preload_length 0
		.amdhsa_user_sgpr_kernarg_preload_offset 0
		.amdhsa_user_sgpr_private_segment_size 0
		.amdhsa_wavefront_size32 1
		.amdhsa_uses_dynamic_stack 0
		.amdhsa_enable_private_segment 0
		.amdhsa_system_sgpr_workgroup_id_x 1
		.amdhsa_system_sgpr_workgroup_id_y 0
		.amdhsa_system_sgpr_workgroup_id_z 0
		.amdhsa_system_sgpr_workgroup_info 0
		.amdhsa_system_vgpr_workitem_id 0
		.amdhsa_next_free_vgpr 24
		.amdhsa_next_free_sgpr 4
		.amdhsa_named_barrier_count 0
		.amdhsa_reserve_vcc 1
		.amdhsa_float_round_mode_32 0
		.amdhsa_float_round_mode_16_64 0
		.amdhsa_float_denorm_mode_32 3
		.amdhsa_float_denorm_mode_16_64 3
		.amdhsa_fp16_overflow 0
		.amdhsa_memory_ordered 1
		.amdhsa_forward_progress 1
		.amdhsa_inst_pref_size 9
		.amdhsa_round_robin_scheduling 0
		.amdhsa_exception_fp_ieee_invalid_op 0
		.amdhsa_exception_fp_denorm_src 0
		.amdhsa_exception_fp_ieee_div_zero 0
		.amdhsa_exception_fp_ieee_overflow 0
		.amdhsa_exception_fp_ieee_underflow 0
		.amdhsa_exception_fp_ieee_inexact 0
		.amdhsa_exception_int_div_zero 0
	.end_amdhsa_kernel
	.section	.text._Z20BlockPrefixSumKernelILi512ELi2ELN6hipcub16HIPCUB_304000_NS18BlockScanAlgorithmE1EEvPKiPi,"axG",@progbits,_Z20BlockPrefixSumKernelILi512ELi2ELN6hipcub16HIPCUB_304000_NS18BlockScanAlgorithmE1EEvPKiPi,comdat
.Lfunc_end1:
	.size	_Z20BlockPrefixSumKernelILi512ELi2ELN6hipcub16HIPCUB_304000_NS18BlockScanAlgorithmE1EEvPKiPi, .Lfunc_end1-_Z20BlockPrefixSumKernelILi512ELi2ELN6hipcub16HIPCUB_304000_NS18BlockScanAlgorithmE1EEvPKiPi
                                        ; -- End function
	.set _Z20BlockPrefixSumKernelILi512ELi2ELN6hipcub16HIPCUB_304000_NS18BlockScanAlgorithmE1EEvPKiPi.num_vgpr, 24
	.set _Z20BlockPrefixSumKernelILi512ELi2ELN6hipcub16HIPCUB_304000_NS18BlockScanAlgorithmE1EEvPKiPi.num_agpr, 0
	.set _Z20BlockPrefixSumKernelILi512ELi2ELN6hipcub16HIPCUB_304000_NS18BlockScanAlgorithmE1EEvPKiPi.numbered_sgpr, 4
	.set _Z20BlockPrefixSumKernelILi512ELi2ELN6hipcub16HIPCUB_304000_NS18BlockScanAlgorithmE1EEvPKiPi.num_named_barrier, 0
	.set _Z20BlockPrefixSumKernelILi512ELi2ELN6hipcub16HIPCUB_304000_NS18BlockScanAlgorithmE1EEvPKiPi.private_seg_size, 0
	.set _Z20BlockPrefixSumKernelILi512ELi2ELN6hipcub16HIPCUB_304000_NS18BlockScanAlgorithmE1EEvPKiPi.uses_vcc, 1
	.set _Z20BlockPrefixSumKernelILi512ELi2ELN6hipcub16HIPCUB_304000_NS18BlockScanAlgorithmE1EEvPKiPi.uses_flat_scratch, 0
	.set _Z20BlockPrefixSumKernelILi512ELi2ELN6hipcub16HIPCUB_304000_NS18BlockScanAlgorithmE1EEvPKiPi.has_dyn_sized_stack, 0
	.set _Z20BlockPrefixSumKernelILi512ELi2ELN6hipcub16HIPCUB_304000_NS18BlockScanAlgorithmE1EEvPKiPi.has_recursion, 0
	.set _Z20BlockPrefixSumKernelILi512ELi2ELN6hipcub16HIPCUB_304000_NS18BlockScanAlgorithmE1EEvPKiPi.has_indirect_call, 0
	.section	.AMDGPU.csdata,"",@progbits
; Kernel info:
; codeLenInByte = 1132
; TotalNumSgprs: 6
; NumVgprs: 24
; ScratchSize: 0
; MemoryBound: 0
; FloatMode: 240
; IeeeMode: 1
; LDSByteSize: 4224 bytes/workgroup (compile time only)
; SGPRBlocks: 0
; VGPRBlocks: 1
; NumSGPRsForWavesPerEU: 6
; NumVGPRsForWavesPerEU: 24
; NamedBarCnt: 0
; Occupancy: 16
; WaveLimiterHint : 1
; COMPUTE_PGM_RSRC2:SCRATCH_EN: 0
; COMPUTE_PGM_RSRC2:USER_SGPR: 2
; COMPUTE_PGM_RSRC2:TRAP_HANDLER: 0
; COMPUTE_PGM_RSRC2:TGID_X_EN: 1
; COMPUTE_PGM_RSRC2:TGID_Y_EN: 0
; COMPUTE_PGM_RSRC2:TGID_Z_EN: 0
; COMPUTE_PGM_RSRC2:TIDIG_COMP_CNT: 0
	.section	.text._Z20BlockPrefixSumKernelILi256ELi4ELN6hipcub16HIPCUB_304000_NS18BlockScanAlgorithmE1EEvPKiPi,"axG",@progbits,_Z20BlockPrefixSumKernelILi256ELi4ELN6hipcub16HIPCUB_304000_NS18BlockScanAlgorithmE1EEvPKiPi,comdat
	.protected	_Z20BlockPrefixSumKernelILi256ELi4ELN6hipcub16HIPCUB_304000_NS18BlockScanAlgorithmE1EEvPKiPi ; -- Begin function _Z20BlockPrefixSumKernelILi256ELi4ELN6hipcub16HIPCUB_304000_NS18BlockScanAlgorithmE1EEvPKiPi
	.globl	_Z20BlockPrefixSumKernelILi256ELi4ELN6hipcub16HIPCUB_304000_NS18BlockScanAlgorithmE1EEvPKiPi
	.p2align	8
	.type	_Z20BlockPrefixSumKernelILi256ELi4ELN6hipcub16HIPCUB_304000_NS18BlockScanAlgorithmE1EEvPKiPi,@function
_Z20BlockPrefixSumKernelILi256ELi4ELN6hipcub16HIPCUB_304000_NS18BlockScanAlgorithmE1EEvPKiPi: ; @_Z20BlockPrefixSumKernelILi256ELi4ELN6hipcub16HIPCUB_304000_NS18BlockScanAlgorithmE1EEvPKiPi
; %bb.0:
	s_load_b128 s[0:3], s[0:1], 0x0
	v_mbcnt_lo_u32_b32 v14, -1, 0
	v_dual_mov_b32 v5, 0 :: v_dual_lshlrev_b32 v15, 2, v0
	s_delay_alu instid0(VALU_DEP_1) | instskip(NEXT) | instid1(VALU_DEP_2)
	v_dual_mov_b32 v3, v5 :: v_dual_lshlrev_b32 v2, 2, v14
	v_and_b32_e32 v1, 0xf80, v15
	s_delay_alu instid0(VALU_DEP_1) | instskip(SKIP_3) | instid1(VALU_DEP_4)
	v_dual_lshlrev_b32 v4, 2, v1 :: v_dual_bitop2_b32 v10, v14, v1 bitop3:0x54
	v_or_b32_e32 v11, 32, v1
	v_or_b32_e32 v12, 64, v1
	;; [unrolled: 1-line block ×3, first 2 shown]
	v_dual_lshrrev_b32 v1, 3, v1 :: v_dual_lshlrev_b32 v17, 2, v10
	s_wait_kmcnt 0x0
	v_add_nc_u64_e32 v[6:7], s[0:1], v[2:3]
	v_dual_lshrrev_b32 v10, 3, v11 :: v_dual_lshrrev_b32 v11, 3, v12
	v_lshrrev_b32_e32 v12, 3, v13
	v_add_nc_u32_e32 v1, v1, v17
	s_mov_b32 s0, exec_lo
	s_delay_alu instid0(VALU_DEP_3)
	v_add_nc_u32_e32 v10, v10, v17
	v_add_nc_u64_e32 v[6:7], v[6:7], v[4:5]
	v_dual_add_nc_u32 v11, v11, v17 :: v_dual_add_nc_u32 v12, v12, v17
	s_clause 0x3
	global_load_b32 v3, v[6:7], off
	global_load_b32 v8, v[6:7], off offset:128
	global_load_b32 v9, v[6:7], off offset:256
	;; [unrolled: 1-line block ×3, first 2 shown]
	s_wait_xcnt 0x0
	v_and_or_b32 v6, 0x3e0, v0, v14
	s_wait_loadcnt 0x3
	ds_store_b32 v1, v3
	s_wait_loadcnt 0x2
	ds_store_b32 v10, v8 offset:128
	s_wait_loadcnt 0x1
	ds_store_b32 v11, v9 offset:256
	;; [unrolled: 2-line block ×3, first 2 shown]
	v_lshlrev_b32_e32 v7, 2, v6
	v_bfe_u32 v6, v6, 3, 27
	; wave barrier
	v_lshrrev_b32_e32 v3, 3, v0
	s_delay_alu instid0(VALU_DEP_2)
	v_add_lshl_u32 v13, v6, v7, 2
	ds_load_2addr_b32 v[8:9], v13 offset1:1
	ds_load_2addr_b32 v[6:7], v13 offset0:2 offset1:3
	v_and_b32_e32 v3, 0x7c, v3
	s_wait_dscnt 0x0
	s_barrier_signal -1
	s_barrier_wait -1
	s_delay_alu instid0(VALU_DEP_1) | instskip(NEXT) | instid1(VALU_DEP_1)
	v_dual_add_nc_u32 v15, v3, v15 :: v_dual_add_nc_u32 v16, v9, v8
	v_add3_u32 v3, v16, v6, v7
	ds_store_b32 v15, v3
	s_wait_dscnt 0x0
	s_barrier_signal -1
	s_barrier_wait -1
	v_cmpx_gt_u32_e32 32, v0
	s_cbranch_execz .LBB2_2
; %bb.1:
	v_and_b32_e32 v7, 0x3fc, v0
	s_delay_alu instid0(VALU_DEP_1)
	v_lshl_add_u32 v7, v0, 5, v7
	ds_load_2addr_b32 v[16:17], v7 offset1:1
	ds_load_2addr_b32 v[18:19], v7 offset0:2 offset1:3
	ds_load_2addr_b32 v[20:21], v7 offset0:4 offset1:5
	;; [unrolled: 1-line block ×3, first 2 shown]
	; wave barrier
	s_wait_dscnt 0x3
	v_dual_add_nc_u32 v15, v17, v16 :: v_dual_bitop2_b32 v17, 15, v14 bitop3:0x40
	s_wait_dscnt 0x2
	s_delay_alu instid0(VALU_DEP_1) | instskip(NEXT) | instid1(VALU_DEP_2)
	v_add3_u32 v15, v15, v18, v19
	v_cmp_ne_u32_e32 vcc_lo, 0, v17
	v_bfe_i32 v19, v14, 4, 1
	s_wait_dscnt 0x1
	s_delay_alu instid0(VALU_DEP_3) | instskip(SKIP_1) | instid1(VALU_DEP_1)
	v_add3_u32 v15, v15, v20, v21
	s_wait_dscnt 0x0
	v_add3_u32 v15, v15, v22, v23
	s_delay_alu instid0(VALU_DEP_1) | instskip(NEXT) | instid1(VALU_DEP_1)
	v_mov_b32_dpp v18, v15 row_shr:1 row_mask:0xf bank_mask:0xf
	v_cndmask_b32_e32 v18, 0, v18, vcc_lo
	v_cmp_lt_u32_e32 vcc_lo, 1, v17
	s_delay_alu instid0(VALU_DEP_2) | instskip(NEXT) | instid1(VALU_DEP_1)
	v_add_nc_u32_e32 v15, v18, v15
	v_mov_b32_dpp v18, v15 row_shr:2 row_mask:0xf bank_mask:0xf
	s_delay_alu instid0(VALU_DEP_1) | instskip(SKIP_1) | instid1(VALU_DEP_2)
	v_cndmask_b32_e32 v18, 0, v18, vcc_lo
	v_cmp_lt_u32_e32 vcc_lo, 3, v17
	v_add_nc_u32_e32 v15, v15, v18
	s_delay_alu instid0(VALU_DEP_1) | instskip(NEXT) | instid1(VALU_DEP_1)
	v_mov_b32_dpp v18, v15 row_shr:4 row_mask:0xf bank_mask:0xf
	v_cndmask_b32_e32 v18, 0, v18, vcc_lo
	v_cmp_lt_u32_e32 vcc_lo, 7, v17
	s_delay_alu instid0(VALU_DEP_2) | instskip(NEXT) | instid1(VALU_DEP_1)
	v_add_nc_u32_e32 v15, v15, v18
	v_mov_b32_dpp v18, v15 row_shr:8 row_mask:0xf bank_mask:0xf
	s_delay_alu instid0(VALU_DEP_1) | instskip(NEXT) | instid1(VALU_DEP_1)
	v_cndmask_b32_e32 v17, 0, v18, vcc_lo
	v_add_nc_u32_e32 v15, v15, v17
	ds_swizzle_b32 v17, v15 offset:swizzle(BROADCAST,32,15)
	s_wait_dscnt 0x0
	v_dual_add_nc_u32 v18, -1, v14 :: v_dual_bitop2_b32 v17, v19, v17 bitop3:0x40
	s_delay_alu instid0(VALU_DEP_1) | instskip(NEXT) | instid1(VALU_DEP_2)
	v_cmp_gt_i32_e32 vcc_lo, 0, v18
	v_dual_cndmask_b32 v14, v18, v14 :: v_dual_add_nc_u32 v15, v15, v17
	v_cmp_eq_u32_e32 vcc_lo, 0, v0
	s_delay_alu instid0(VALU_DEP_2) | instskip(SKIP_3) | instid1(VALU_DEP_1)
	v_lshlrev_b32_e32 v14, 2, v14
	ds_bpermute_b32 v14, v14, v15
	s_wait_dscnt 0x0
	v_add_nc_u32_e32 v14, v14, v16
	v_cndmask_b32_e32 v3, v14, v3, vcc_lo
	ds_store_b32 v7, v3
	; wave barrier
	ds_load_2addr_b32 v[14:15], v7 offset0:1 offset1:2
	ds_load_2addr_b32 v[16:17], v7 offset0:3 offset1:4
	;; [unrolled: 1-line block ×3, first 2 shown]
	ds_load_b32 v20, v7 offset:28
	s_wait_dscnt 0x3
	v_add_nc_u32_e32 v3, v14, v3
	s_delay_alu instid0(VALU_DEP_1) | instskip(SKIP_1) | instid1(VALU_DEP_1)
	v_add_nc_u32_e32 v14, v15, v3
	s_wait_dscnt 0x2
	v_add_nc_u32_e32 v15, v16, v14
	s_delay_alu instid0(VALU_DEP_1) | instskip(SKIP_1) | instid1(VALU_DEP_1)
	v_add_nc_u32_e32 v16, v17, v15
	;; [unrolled: 4-line block ×3, first 2 shown]
	s_wait_dscnt 0x0
	v_add_nc_u32_e32 v19, v20, v18
	ds_store_2addr_b32 v7, v3, v14 offset0:1 offset1:2
	ds_store_2addr_b32 v7, v15, v16 offset0:3 offset1:4
	;; [unrolled: 1-line block ×3, first 2 shown]
	ds_store_b32 v7, v19 offset:28
.LBB2_2:
	s_or_b32 exec_lo, exec_lo, s0
	s_delay_alu instid0(SALU_CYCLE_1)
	s_mov_b32 s1, exec_lo
	v_cmp_eq_u32_e32 vcc_lo, 0, v0
	s_wait_dscnt 0x0
	s_barrier_signal -1
	s_barrier_wait -1
	v_cmpx_ne_u32_e32 0, v0
	s_cbranch_execz .LBB2_4
; %bb.3:
	v_add_nc_u32_e32 v0, -1, v0
	s_delay_alu instid0(VALU_DEP_1) | instskip(NEXT) | instid1(VALU_DEP_1)
	v_lshrrev_b32_e32 v3, 3, v0
	v_and_b32_e32 v3, 0x1ffffffc, v3
	s_delay_alu instid0(VALU_DEP_1)
	v_lshl_add_u32 v0, v0, 2, v3
	ds_load_b32 v5, v0
.LBB2_4:
	s_or_b32 exec_lo, exec_lo, s1
	s_wait_dscnt 0x0
	v_dual_add_nc_u32 v7, v5, v8 :: v_dual_mov_b32 v3, 0
	s_delay_alu instid0(VALU_DEP_1)
	v_add_nc_u32_e32 v8, v7, v9
	ds_load_b32 v0, v3 offset:1048
	s_wait_dscnt 0x0
	s_barrier_signal -1
	s_barrier_wait -1
	v_add_nc_u32_e32 v6, v8, v6
	ds_store_2addr_b32 v13, v5, v7 offset1:1
	ds_store_2addr_b32 v13, v8, v6 offset0:2 offset1:3
	; wave barrier
	ds_load_b32 v1, v1
	ds_load_b32 v8, v10 offset:128
	ds_load_b32 v9, v11 offset:256
	;; [unrolled: 1-line block ×3, first 2 shown]
	v_add_nc_u64_e32 v[6:7], s[2:3], v[2:3]
	v_mov_b32_e32 v5, v3
	s_delay_alu instid0(VALU_DEP_1)
	v_add_nc_u64_e32 v[4:5], v[6:7], v[4:5]
	s_wait_dscnt 0x3
	global_store_b32 v[4:5], v1, off
	s_wait_dscnt 0x2
	global_store_b32 v[4:5], v8, off offset:128
	s_wait_dscnt 0x1
	global_store_b32 v[4:5], v9, off offset:256
	;; [unrolled: 2-line block ×3, first 2 shown]
	s_wait_xcnt 0x0
	s_and_saveexec_b32 s0, vcc_lo
	s_cbranch_execz .LBB2_6
; %bb.5:
	global_store_b32 v3, v0, s[2:3] offset:4096
.LBB2_6:
	s_endpgm
	.section	.rodata,"a",@progbits
	.p2align	6, 0x0
	.amdhsa_kernel _Z20BlockPrefixSumKernelILi256ELi4ELN6hipcub16HIPCUB_304000_NS18BlockScanAlgorithmE1EEvPKiPi
		.amdhsa_group_segment_fixed_size 4224
		.amdhsa_private_segment_fixed_size 0
		.amdhsa_kernarg_size 16
		.amdhsa_user_sgpr_count 2
		.amdhsa_user_sgpr_dispatch_ptr 0
		.amdhsa_user_sgpr_queue_ptr 0
		.amdhsa_user_sgpr_kernarg_segment_ptr 1
		.amdhsa_user_sgpr_dispatch_id 0
		.amdhsa_user_sgpr_kernarg_preload_length 0
		.amdhsa_user_sgpr_kernarg_preload_offset 0
		.amdhsa_user_sgpr_private_segment_size 0
		.amdhsa_wavefront_size32 1
		.amdhsa_uses_dynamic_stack 0
		.amdhsa_enable_private_segment 0
		.amdhsa_system_sgpr_workgroup_id_x 1
		.amdhsa_system_sgpr_workgroup_id_y 0
		.amdhsa_system_sgpr_workgroup_id_z 0
		.amdhsa_system_sgpr_workgroup_info 0
		.amdhsa_system_vgpr_workitem_id 0
		.amdhsa_next_free_vgpr 24
		.amdhsa_next_free_sgpr 4
		.amdhsa_named_barrier_count 0
		.amdhsa_reserve_vcc 1
		.amdhsa_float_round_mode_32 0
		.amdhsa_float_round_mode_16_64 0
		.amdhsa_float_denorm_mode_32 3
		.amdhsa_float_denorm_mode_16_64 3
		.amdhsa_fp16_overflow 0
		.amdhsa_memory_ordered 1
		.amdhsa_forward_progress 1
		.amdhsa_inst_pref_size 9
		.amdhsa_round_robin_scheduling 0
		.amdhsa_exception_fp_ieee_invalid_op 0
		.amdhsa_exception_fp_denorm_src 0
		.amdhsa_exception_fp_ieee_div_zero 0
		.amdhsa_exception_fp_ieee_overflow 0
		.amdhsa_exception_fp_ieee_underflow 0
		.amdhsa_exception_fp_ieee_inexact 0
		.amdhsa_exception_int_div_zero 0
	.end_amdhsa_kernel
	.section	.text._Z20BlockPrefixSumKernelILi256ELi4ELN6hipcub16HIPCUB_304000_NS18BlockScanAlgorithmE1EEvPKiPi,"axG",@progbits,_Z20BlockPrefixSumKernelILi256ELi4ELN6hipcub16HIPCUB_304000_NS18BlockScanAlgorithmE1EEvPKiPi,comdat
.Lfunc_end2:
	.size	_Z20BlockPrefixSumKernelILi256ELi4ELN6hipcub16HIPCUB_304000_NS18BlockScanAlgorithmE1EEvPKiPi, .Lfunc_end2-_Z20BlockPrefixSumKernelILi256ELi4ELN6hipcub16HIPCUB_304000_NS18BlockScanAlgorithmE1EEvPKiPi
                                        ; -- End function
	.set _Z20BlockPrefixSumKernelILi256ELi4ELN6hipcub16HIPCUB_304000_NS18BlockScanAlgorithmE1EEvPKiPi.num_vgpr, 24
	.set _Z20BlockPrefixSumKernelILi256ELi4ELN6hipcub16HIPCUB_304000_NS18BlockScanAlgorithmE1EEvPKiPi.num_agpr, 0
	.set _Z20BlockPrefixSumKernelILi256ELi4ELN6hipcub16HIPCUB_304000_NS18BlockScanAlgorithmE1EEvPKiPi.numbered_sgpr, 4
	.set _Z20BlockPrefixSumKernelILi256ELi4ELN6hipcub16HIPCUB_304000_NS18BlockScanAlgorithmE1EEvPKiPi.num_named_barrier, 0
	.set _Z20BlockPrefixSumKernelILi256ELi4ELN6hipcub16HIPCUB_304000_NS18BlockScanAlgorithmE1EEvPKiPi.private_seg_size, 0
	.set _Z20BlockPrefixSumKernelILi256ELi4ELN6hipcub16HIPCUB_304000_NS18BlockScanAlgorithmE1EEvPKiPi.uses_vcc, 1
	.set _Z20BlockPrefixSumKernelILi256ELi4ELN6hipcub16HIPCUB_304000_NS18BlockScanAlgorithmE1EEvPKiPi.uses_flat_scratch, 0
	.set _Z20BlockPrefixSumKernelILi256ELi4ELN6hipcub16HIPCUB_304000_NS18BlockScanAlgorithmE1EEvPKiPi.has_dyn_sized_stack, 0
	.set _Z20BlockPrefixSumKernelILi256ELi4ELN6hipcub16HIPCUB_304000_NS18BlockScanAlgorithmE1EEvPKiPi.has_recursion, 0
	.set _Z20BlockPrefixSumKernelILi256ELi4ELN6hipcub16HIPCUB_304000_NS18BlockScanAlgorithmE1EEvPKiPi.has_indirect_call, 0
	.section	.AMDGPU.csdata,"",@progbits
; Kernel info:
; codeLenInByte = 1088
; TotalNumSgprs: 6
; NumVgprs: 24
; ScratchSize: 0
; MemoryBound: 0
; FloatMode: 240
; IeeeMode: 1
; LDSByteSize: 4224 bytes/workgroup (compile time only)
; SGPRBlocks: 0
; VGPRBlocks: 1
; NumSGPRsForWavesPerEU: 6
; NumVGPRsForWavesPerEU: 24
; NamedBarCnt: 0
; Occupancy: 16
; WaveLimiterHint : 1
; COMPUTE_PGM_RSRC2:SCRATCH_EN: 0
; COMPUTE_PGM_RSRC2:USER_SGPR: 2
; COMPUTE_PGM_RSRC2:TRAP_HANDLER: 0
; COMPUTE_PGM_RSRC2:TGID_X_EN: 1
; COMPUTE_PGM_RSRC2:TGID_Y_EN: 0
; COMPUTE_PGM_RSRC2:TGID_Z_EN: 0
; COMPUTE_PGM_RSRC2:TIDIG_COMP_CNT: 0
	.section	.text._Z20BlockPrefixSumKernelILi128ELi8ELN6hipcub16HIPCUB_304000_NS18BlockScanAlgorithmE1EEvPKiPi,"axG",@progbits,_Z20BlockPrefixSumKernelILi128ELi8ELN6hipcub16HIPCUB_304000_NS18BlockScanAlgorithmE1EEvPKiPi,comdat
	.protected	_Z20BlockPrefixSumKernelILi128ELi8ELN6hipcub16HIPCUB_304000_NS18BlockScanAlgorithmE1EEvPKiPi ; -- Begin function _Z20BlockPrefixSumKernelILi128ELi8ELN6hipcub16HIPCUB_304000_NS18BlockScanAlgorithmE1EEvPKiPi
	.globl	_Z20BlockPrefixSumKernelILi128ELi8ELN6hipcub16HIPCUB_304000_NS18BlockScanAlgorithmE1EEvPKiPi
	.p2align	8
	.type	_Z20BlockPrefixSumKernelILi128ELi8ELN6hipcub16HIPCUB_304000_NS18BlockScanAlgorithmE1EEvPKiPi,@function
_Z20BlockPrefixSumKernelILi128ELi8ELN6hipcub16HIPCUB_304000_NS18BlockScanAlgorithmE1EEvPKiPi: ; @_Z20BlockPrefixSumKernelILi128ELi8ELN6hipcub16HIPCUB_304000_NS18BlockScanAlgorithmE1EEvPKiPi
; %bb.0:
	s_load_b128 s[0:3], s[0:1], 0x0
	v_mbcnt_lo_u32_b32 v22, -1, 0
	v_dual_mov_b32 v5, 0 :: v_dual_lshlrev_b32 v1, 3, v0
	s_delay_alu instid0(VALU_DEP_1) | instskip(NEXT) | instid1(VALU_DEP_2)
	v_dual_mov_b32 v3, v5 :: v_dual_lshlrev_b32 v2, 2, v22
	v_and_b32_e32 v1, 0x1f00, v1
	s_delay_alu instid0(VALU_DEP_1)
	v_dual_lshlrev_b32 v4, 2, v1 :: v_dual_bitop2_b32 v14, v22, v1 bitop3:0x54
	v_dual_lshrrev_b32 v15, 3, v1 :: v_dual_bitop2_b32 v16, 32, v1 bitop3:0x54
	v_or_b32_e32 v17, 64, v1
	v_or_b32_e32 v18, 0x60, v1
	;; [unrolled: 1-line block ×3, first 2 shown]
	s_wait_kmcnt 0x0
	v_add_nc_u64_e32 v[6:7], s[0:1], v[2:3]
	v_or_b32_e32 v20, 0xa0, v1
	v_or_b32_e32 v21, 0xc0, v1
	;; [unrolled: 1-line block ×3, first 2 shown]
	s_mov_b32 s0, exec_lo
	s_delay_alu instid0(VALU_DEP_4)
	v_add_nc_u64_e32 v[6:7], v[6:7], v[4:5]
	s_clause 0x7
	global_load_b32 v3, v[6:7], off
	global_load_b32 v8, v[6:7], off offset:128
	global_load_b32 v9, v[6:7], off offset:256
	;; [unrolled: 1-line block ×7, first 2 shown]
	s_wait_xcnt 0x0
	v_and_or_b32 v6, 0x3e0, v0, v22
	s_delay_alu instid0(VALU_DEP_1) | instskip(SKIP_1) | instid1(VALU_DEP_1)
	v_lshlrev_b32_e32 v7, 3, v6
	v_bfe_u32 v6, v6, 2, 27
	v_add_lshl_u32 v1, v6, v7, 2
	v_dual_lshlrev_b32 v6, 2, v14 :: v_dual_lshrrev_b32 v7, 3, v16
	v_dual_lshrrev_b32 v16, 3, v17 :: v_dual_lshrrev_b32 v17, 3, v18
	v_dual_lshrrev_b32 v18, 3, v19 :: v_dual_lshrrev_b32 v19, 3, v20
	;; [unrolled: 1-line block ×3, first 2 shown]
	s_delay_alu instid0(VALU_DEP_3) | instskip(NEXT) | instid1(VALU_DEP_4)
	v_dual_add_nc_u32 v14, v15, v6 :: v_dual_add_nc_u32 v16, v16, v6
	v_dual_add_nc_u32 v15, v7, v6 :: v_dual_add_nc_u32 v17, v17, v6
	s_delay_alu instid0(VALU_DEP_4) | instskip(NEXT) | instid1(VALU_DEP_4)
	v_dual_add_nc_u32 v18, v18, v6 :: v_dual_add_nc_u32 v19, v19, v6
	v_dual_add_nc_u32 v20, v20, v6 :: v_dual_add_nc_u32 v21, v21, v6
	s_wait_loadcnt 0x7
	ds_store_b32 v14, v3
	s_wait_loadcnt 0x6
	ds_store_b32 v15, v8 offset:128
	s_wait_loadcnt 0x5
	ds_store_b32 v16, v9 offset:256
	;; [unrolled: 2-line block ×7, first 2 shown]
	; wave barrier
	ds_load_2addr_b32 v[12:13], v1 offset1:1
	ds_load_2addr_b32 v[10:11], v1 offset0:2 offset1:3
	ds_load_2addr_b32 v[8:9], v1 offset0:4 offset1:5
	;; [unrolled: 1-line block ×3, first 2 shown]
	v_lshrrev_b32_e32 v23, 3, v0
	s_wait_dscnt 0x0
	s_barrier_signal -1
	s_barrier_wait -1
	s_delay_alu instid0(VALU_DEP_1) | instskip(NEXT) | instid1(VALU_DEP_1)
	v_and_b32_e32 v23, 0x7c, v23
	v_lshl_add_u32 v23, v0, 2, v23
	v_add_nc_u32_e32 v3, v13, v12
	s_delay_alu instid0(VALU_DEP_1) | instskip(NEXT) | instid1(VALU_DEP_1)
	v_add3_u32 v3, v3, v10, v11
	v_add3_u32 v3, v3, v8, v9
	s_delay_alu instid0(VALU_DEP_1)
	v_add3_u32 v3, v3, v6, v7
	ds_store_b32 v23, v3
	s_wait_dscnt 0x0
	s_barrier_signal -1
	s_barrier_wait -1
	v_cmpx_gt_u32_e32 32, v0
	s_cbranch_execz .LBB3_2
; %bb.1:
	v_lshrrev_b32_e32 v7, 1, v0
	s_delay_alu instid0(VALU_DEP_1) | instskip(NEXT) | instid1(VALU_DEP_1)
	v_and_b32_e32 v7, 0x1fc, v7
	v_lshl_add_u32 v7, v0, 4, v7
	ds_load_2addr_b32 v[24:25], v7 offset1:1
	ds_load_2addr_b32 v[26:27], v7 offset0:2 offset1:3
	; wave barrier
	s_wait_dscnt 0x1
	v_dual_add_nc_u32 v23, v25, v24 :: v_dual_bitop2_b32 v25, 15, v22 bitop3:0x40
	s_wait_dscnt 0x0
	s_delay_alu instid0(VALU_DEP_1) | instskip(NEXT) | instid1(VALU_DEP_2)
	v_add3_u32 v23, v23, v26, v27
	v_cmp_ne_u32_e32 vcc_lo, 0, v25
	v_bfe_i32 v27, v22, 4, 1
	s_delay_alu instid0(VALU_DEP_3) | instskip(NEXT) | instid1(VALU_DEP_1)
	v_mov_b32_dpp v26, v23 row_shr:1 row_mask:0xf bank_mask:0xf
	v_cndmask_b32_e32 v26, 0, v26, vcc_lo
	v_cmp_lt_u32_e32 vcc_lo, 1, v25
	s_delay_alu instid0(VALU_DEP_2) | instskip(NEXT) | instid1(VALU_DEP_1)
	v_add_nc_u32_e32 v23, v26, v23
	v_mov_b32_dpp v26, v23 row_shr:2 row_mask:0xf bank_mask:0xf
	s_delay_alu instid0(VALU_DEP_1) | instskip(SKIP_1) | instid1(VALU_DEP_2)
	v_cndmask_b32_e32 v26, 0, v26, vcc_lo
	v_cmp_lt_u32_e32 vcc_lo, 3, v25
	v_add_nc_u32_e32 v23, v23, v26
	s_delay_alu instid0(VALU_DEP_1) | instskip(NEXT) | instid1(VALU_DEP_1)
	v_mov_b32_dpp v26, v23 row_shr:4 row_mask:0xf bank_mask:0xf
	v_cndmask_b32_e32 v26, 0, v26, vcc_lo
	v_cmp_lt_u32_e32 vcc_lo, 7, v25
	s_delay_alu instid0(VALU_DEP_2) | instskip(NEXT) | instid1(VALU_DEP_1)
	v_add_nc_u32_e32 v23, v23, v26
	v_mov_b32_dpp v26, v23 row_shr:8 row_mask:0xf bank_mask:0xf
	s_delay_alu instid0(VALU_DEP_1) | instskip(NEXT) | instid1(VALU_DEP_1)
	v_cndmask_b32_e32 v25, 0, v26, vcc_lo
	v_dual_add_nc_u32 v26, -1, v22 :: v_dual_add_nc_u32 v23, v23, v25
	s_delay_alu instid0(VALU_DEP_1) | instskip(SKIP_4) | instid1(VALU_DEP_2)
	v_cmp_gt_i32_e32 vcc_lo, 0, v26
	ds_swizzle_b32 v25, v23 offset:swizzle(BROADCAST,32,15)
	v_cndmask_b32_e32 v22, v26, v22, vcc_lo
	v_cmp_eq_u32_e32 vcc_lo, 0, v0
	s_wait_dscnt 0x0
	v_dual_lshlrev_b32 v22, 2, v22 :: v_dual_bitop2_b32 v25, v27, v25 bitop3:0x40
	s_delay_alu instid0(VALU_DEP_1) | instskip(SKIP_3) | instid1(VALU_DEP_1)
	v_add_nc_u32_e32 v23, v23, v25
	ds_bpermute_b32 v22, v22, v23
	s_wait_dscnt 0x0
	v_add_nc_u32_e32 v22, v22, v24
	v_cndmask_b32_e32 v3, v22, v3, vcc_lo
	ds_store_b32 v7, v3
	; wave barrier
	ds_load_2addr_b32 v[22:23], v7 offset0:1 offset1:2
	ds_load_b32 v24, v7 offset:12
	s_wait_dscnt 0x1
	v_add_nc_u32_e32 v3, v22, v3
	s_delay_alu instid0(VALU_DEP_1) | instskip(SKIP_1) | instid1(VALU_DEP_1)
	v_add_nc_u32_e32 v22, v23, v3
	s_wait_dscnt 0x0
	v_add_nc_u32_e32 v23, v24, v22
	ds_store_2addr_b32 v7, v3, v22 offset0:1 offset1:2
	ds_store_b32 v7, v23 offset:12
.LBB3_2:
	s_or_b32 exec_lo, exec_lo, s0
	s_delay_alu instid0(SALU_CYCLE_1)
	s_mov_b32 s1, exec_lo
	v_cmp_eq_u32_e32 vcc_lo, 0, v0
	s_wait_dscnt 0x0
	s_barrier_signal -1
	s_barrier_wait -1
	v_cmpx_ne_u32_e32 0, v0
	s_cbranch_execz .LBB3_4
; %bb.3:
	v_add_nc_u32_e32 v0, -1, v0
	s_delay_alu instid0(VALU_DEP_1) | instskip(NEXT) | instid1(VALU_DEP_1)
	v_lshrrev_b32_e32 v3, 3, v0
	v_and_b32_e32 v3, 0x1ffffffc, v3
	s_delay_alu instid0(VALU_DEP_1)
	v_lshl_add_u32 v0, v0, 2, v3
	ds_load_b32 v5, v0
.LBB3_4:
	s_or_b32 exec_lo, exec_lo, s1
	s_wait_dscnt 0x0
	v_dual_mov_b32 v3, 0 :: v_dual_add_nc_u32 v12, v5, v12
	s_delay_alu instid0(VALU_DEP_1)
	v_add_nc_u32_e32 v13, v12, v13
	ds_load_b32 v0, v3 offset:520
	s_wait_dscnt 0x0
	s_barrier_signal -1
	s_barrier_wait -1
	v_add_nc_u32_e32 v10, v13, v10
	s_delay_alu instid0(VALU_DEP_1) | instskip(NEXT) | instid1(VALU_DEP_1)
	v_add_nc_u32_e32 v11, v10, v11
	v_add_nc_u32_e32 v8, v11, v8
	s_delay_alu instid0(VALU_DEP_1) | instskip(NEXT) | instid1(VALU_DEP_1)
	v_add_nc_u32_e32 v9, v8, v9
	v_add_nc_u32_e32 v22, v9, v6
	v_add_nc_u64_e32 v[6:7], s[2:3], v[2:3]
	ds_store_2addr_b32 v1, v5, v12 offset1:1
	ds_store_2addr_b32 v1, v13, v10 offset0:2 offset1:3
	ds_store_2addr_b32 v1, v11, v8 offset0:4 offset1:5
	;; [unrolled: 1-line block ×3, first 2 shown]
	; wave barrier
	ds_load_b32 v1, v14
	ds_load_b32 v2, v15 offset:128
	ds_load_b32 v8, v16 offset:256
	;; [unrolled: 1-line block ×7, first 2 shown]
	v_mov_b32_e32 v5, v3
	s_delay_alu instid0(VALU_DEP_1)
	v_add_nc_u64_e32 v[4:5], v[6:7], v[4:5]
	s_wait_dscnt 0x7
	global_store_b32 v[4:5], v1, off
	s_wait_dscnt 0x6
	global_store_b32 v[4:5], v2, off offset:128
	s_wait_dscnt 0x5
	global_store_b32 v[4:5], v8, off offset:256
	;; [unrolled: 2-line block ×7, first 2 shown]
	s_wait_xcnt 0x0
	s_and_saveexec_b32 s0, vcc_lo
	s_cbranch_execz .LBB3_6
; %bb.5:
	global_store_b32 v3, v0, s[2:3] offset:4096
.LBB3_6:
	s_endpgm
	.section	.rodata,"a",@progbits
	.p2align	6, 0x0
	.amdhsa_kernel _Z20BlockPrefixSumKernelILi128ELi8ELN6hipcub16HIPCUB_304000_NS18BlockScanAlgorithmE1EEvPKiPi
		.amdhsa_group_segment_fixed_size 4224
		.amdhsa_private_segment_fixed_size 0
		.amdhsa_kernarg_size 16
		.amdhsa_user_sgpr_count 2
		.amdhsa_user_sgpr_dispatch_ptr 0
		.amdhsa_user_sgpr_queue_ptr 0
		.amdhsa_user_sgpr_kernarg_segment_ptr 1
		.amdhsa_user_sgpr_dispatch_id 0
		.amdhsa_user_sgpr_kernarg_preload_length 0
		.amdhsa_user_sgpr_kernarg_preload_offset 0
		.amdhsa_user_sgpr_private_segment_size 0
		.amdhsa_wavefront_size32 1
		.amdhsa_uses_dynamic_stack 0
		.amdhsa_enable_private_segment 0
		.amdhsa_system_sgpr_workgroup_id_x 1
		.amdhsa_system_sgpr_workgroup_id_y 0
		.amdhsa_system_sgpr_workgroup_id_z 0
		.amdhsa_system_sgpr_workgroup_info 0
		.amdhsa_system_vgpr_workitem_id 0
		.amdhsa_next_free_vgpr 28
		.amdhsa_next_free_sgpr 4
		.amdhsa_named_barrier_count 0
		.amdhsa_reserve_vcc 1
		.amdhsa_float_round_mode_32 0
		.amdhsa_float_round_mode_16_64 0
		.amdhsa_float_denorm_mode_32 3
		.amdhsa_float_denorm_mode_16_64 3
		.amdhsa_fp16_overflow 0
		.amdhsa_memory_ordered 1
		.amdhsa_forward_progress 1
		.amdhsa_inst_pref_size 11
		.amdhsa_round_robin_scheduling 0
		.amdhsa_exception_fp_ieee_invalid_op 0
		.amdhsa_exception_fp_denorm_src 0
		.amdhsa_exception_fp_ieee_div_zero 0
		.amdhsa_exception_fp_ieee_overflow 0
		.amdhsa_exception_fp_ieee_underflow 0
		.amdhsa_exception_fp_ieee_inexact 0
		.amdhsa_exception_int_div_zero 0
	.end_amdhsa_kernel
	.section	.text._Z20BlockPrefixSumKernelILi128ELi8ELN6hipcub16HIPCUB_304000_NS18BlockScanAlgorithmE1EEvPKiPi,"axG",@progbits,_Z20BlockPrefixSumKernelILi128ELi8ELN6hipcub16HIPCUB_304000_NS18BlockScanAlgorithmE1EEvPKiPi,comdat
.Lfunc_end3:
	.size	_Z20BlockPrefixSumKernelILi128ELi8ELN6hipcub16HIPCUB_304000_NS18BlockScanAlgorithmE1EEvPKiPi, .Lfunc_end3-_Z20BlockPrefixSumKernelILi128ELi8ELN6hipcub16HIPCUB_304000_NS18BlockScanAlgorithmE1EEvPKiPi
                                        ; -- End function
	.set _Z20BlockPrefixSumKernelILi128ELi8ELN6hipcub16HIPCUB_304000_NS18BlockScanAlgorithmE1EEvPKiPi.num_vgpr, 28
	.set _Z20BlockPrefixSumKernelILi128ELi8ELN6hipcub16HIPCUB_304000_NS18BlockScanAlgorithmE1EEvPKiPi.num_agpr, 0
	.set _Z20BlockPrefixSumKernelILi128ELi8ELN6hipcub16HIPCUB_304000_NS18BlockScanAlgorithmE1EEvPKiPi.numbered_sgpr, 4
	.set _Z20BlockPrefixSumKernelILi128ELi8ELN6hipcub16HIPCUB_304000_NS18BlockScanAlgorithmE1EEvPKiPi.num_named_barrier, 0
	.set _Z20BlockPrefixSumKernelILi128ELi8ELN6hipcub16HIPCUB_304000_NS18BlockScanAlgorithmE1EEvPKiPi.private_seg_size, 0
	.set _Z20BlockPrefixSumKernelILi128ELi8ELN6hipcub16HIPCUB_304000_NS18BlockScanAlgorithmE1EEvPKiPi.uses_vcc, 1
	.set _Z20BlockPrefixSumKernelILi128ELi8ELN6hipcub16HIPCUB_304000_NS18BlockScanAlgorithmE1EEvPKiPi.uses_flat_scratch, 0
	.set _Z20BlockPrefixSumKernelILi128ELi8ELN6hipcub16HIPCUB_304000_NS18BlockScanAlgorithmE1EEvPKiPi.has_dyn_sized_stack, 0
	.set _Z20BlockPrefixSumKernelILi128ELi8ELN6hipcub16HIPCUB_304000_NS18BlockScanAlgorithmE1EEvPKiPi.has_recursion, 0
	.set _Z20BlockPrefixSumKernelILi128ELi8ELN6hipcub16HIPCUB_304000_NS18BlockScanAlgorithmE1EEvPKiPi.has_indirect_call, 0
	.section	.AMDGPU.csdata,"",@progbits
; Kernel info:
; codeLenInByte = 1352
; TotalNumSgprs: 6
; NumVgprs: 28
; ScratchSize: 0
; MemoryBound: 0
; FloatMode: 240
; IeeeMode: 1
; LDSByteSize: 4224 bytes/workgroup (compile time only)
; SGPRBlocks: 0
; VGPRBlocks: 1
; NumSGPRsForWavesPerEU: 6
; NumVGPRsForWavesPerEU: 28
; NamedBarCnt: 0
; Occupancy: 16
; WaveLimiterHint : 1
; COMPUTE_PGM_RSRC2:SCRATCH_EN: 0
; COMPUTE_PGM_RSRC2:USER_SGPR: 2
; COMPUTE_PGM_RSRC2:TRAP_HANDLER: 0
; COMPUTE_PGM_RSRC2:TGID_X_EN: 1
; COMPUTE_PGM_RSRC2:TGID_Y_EN: 0
; COMPUTE_PGM_RSRC2:TGID_Z_EN: 0
; COMPUTE_PGM_RSRC2:TIDIG_COMP_CNT: 0
	.section	.text._Z20BlockPrefixSumKernelILi64ELi16ELN6hipcub16HIPCUB_304000_NS18BlockScanAlgorithmE1EEvPKiPi,"axG",@progbits,_Z20BlockPrefixSumKernelILi64ELi16ELN6hipcub16HIPCUB_304000_NS18BlockScanAlgorithmE1EEvPKiPi,comdat
	.protected	_Z20BlockPrefixSumKernelILi64ELi16ELN6hipcub16HIPCUB_304000_NS18BlockScanAlgorithmE1EEvPKiPi ; -- Begin function _Z20BlockPrefixSumKernelILi64ELi16ELN6hipcub16HIPCUB_304000_NS18BlockScanAlgorithmE1EEvPKiPi
	.globl	_Z20BlockPrefixSumKernelILi64ELi16ELN6hipcub16HIPCUB_304000_NS18BlockScanAlgorithmE1EEvPKiPi
	.p2align	8
	.type	_Z20BlockPrefixSumKernelILi64ELi16ELN6hipcub16HIPCUB_304000_NS18BlockScanAlgorithmE1EEvPKiPi,@function
_Z20BlockPrefixSumKernelILi64ELi16ELN6hipcub16HIPCUB_304000_NS18BlockScanAlgorithmE1EEvPKiPi: ; @_Z20BlockPrefixSumKernelILi64ELi16ELN6hipcub16HIPCUB_304000_NS18BlockScanAlgorithmE1EEvPKiPi
; %bb.0:
	s_load_b128 s[0:3], s[0:1], 0x0
	v_mbcnt_lo_u32_b32 v1, -1, 0
	v_dual_mov_b32 v5, 0 :: v_dual_lshlrev_b32 v4, 4, v0
	s_delay_alu instid0(VALU_DEP_1) | instskip(NEXT) | instid1(VALU_DEP_2)
	v_dual_mov_b32 v3, v5 :: v_dual_lshlrev_b32 v2, 2, v1
	v_and_b32_e32 v8, 0x3e00, v4
	s_delay_alu instid0(VALU_DEP_1)
	v_dual_lshlrev_b32 v4, 2, v8 :: v_dual_bitop2_b32 v23, v1, v8 bitop3:0x54
	v_dual_lshrrev_b32 v24, 3, v8 :: v_dual_bitop2_b32 v25, 32, v8 bitop3:0x54
	v_or_b32_e32 v27, 0x60, v8
	v_or_b32_e32 v28, 0x80, v8
	;; [unrolled: 1-line block ×3, first 2 shown]
	s_wait_kmcnt 0x0
	v_add_nc_u64_e32 v[6:7], s[0:1], v[2:3]
	v_or_b32_e32 v30, 0xc0, v8
	v_or_b32_e32 v31, 0xe0, v8
	;; [unrolled: 1-line block ×6, first 2 shown]
	v_add_nc_u64_e32 v[6:7], v[6:7], v[4:5]
	v_or_b32_e32 v36, 0x180, v8
	v_or_b32_e32 v37, 0x1a0, v8
	;; [unrolled: 1-line block ×3, first 2 shown]
	v_dual_lshrrev_b32 v28, 3, v28 :: v_dual_lshrrev_b32 v29, 3, v29
	v_dual_lshrrev_b32 v30, 3, v30 :: v_dual_lshrrev_b32 v31, 3, v31
	s_clause 0xf
	global_load_b32 v3, v[6:7], off
	global_load_b32 v9, v[6:7], off offset:128
	global_load_b32 v10, v[6:7], off offset:256
	;; [unrolled: 1-line block ×15, first 2 shown]
	s_wait_xcnt 0x0
	v_and_or_b32 v7, 0x3e0, v0, v1
	v_dual_lshrrev_b32 v32, 3, v32 :: v_dual_lshrrev_b32 v33, 3, v33
	v_dual_lshrrev_b32 v34, 3, v34 :: v_dual_lshrrev_b32 v35, 3, v35
	s_delay_alu instid0(VALU_DEP_3) | instskip(SKIP_4) | instid1(VALU_DEP_3)
	v_lshlrev_b32_e32 v22, 4, v7
	v_bfe_u32 v7, v7, 1, 27
	v_dual_lshrrev_b32 v36, 3, v36 :: v_dual_lshrrev_b32 v37, 3, v37
	s_mov_b32 s0, exec_lo
	v_lshrrev_b32_e32 v27, 3, v27
	v_add_lshl_u32 v22, v7, v22, 2
	v_dual_lshlrev_b32 v7, 2, v23 :: v_dual_bitop2_b32 v26, 64, v8 bitop3:0x54
	v_lshrrev_b32_e32 v25, 3, v25
	v_or_b32_e32 v8, 0x1e0, v8
	s_delay_alu instid0(VALU_DEP_3) | instskip(NEXT) | instid1(VALU_DEP_3)
	v_dual_lshrrev_b32 v38, 3, v38 :: v_dual_add_nc_u32 v23, v24, v7
	v_dual_lshrrev_b32 v26, 3, v26 :: v_dual_add_nc_u32 v24, v25, v7
	s_delay_alu instid0(VALU_DEP_1)
	v_dual_lshrrev_b32 v8, 3, v8 :: v_dual_add_nc_u32 v25, v26, v7
	v_dual_add_nc_u32 v26, v27, v7 :: v_dual_add_nc_u32 v27, v28, v7
	v_dual_add_nc_u32 v28, v29, v7 :: v_dual_add_nc_u32 v29, v30, v7
	;; [unrolled: 1-line block ×6, first 2 shown]
	v_add_nc_u32_e32 v38, v8, v7
	s_wait_loadcnt 0xf
	ds_store_b32 v23, v3
	s_wait_loadcnt 0xe
	ds_store_b32 v24, v9 offset:128
	s_wait_loadcnt 0xd
	ds_store_b32 v25, v10 offset:256
	;; [unrolled: 2-line block ×15, first 2 shown]
	; wave barrier
	ds_load_2addr_b32 v[16:17], v22 offset1:1
	ds_load_2addr_b32 v[14:15], v22 offset0:2 offset1:3
	ds_load_2addr_b32 v[12:13], v22 offset0:4 offset1:5
	;; [unrolled: 1-line block ×7, first 2 shown]
	v_lshrrev_b32_e32 v39, 3, v0
	s_wait_dscnt 0x0
	s_barrier_signal -1
	s_barrier_wait -1
	s_delay_alu instid0(VALU_DEP_1) | instskip(NEXT) | instid1(VALU_DEP_1)
	v_and_b32_e32 v39, 0x7c, v39
	v_lshl_add_u32 v39, v0, 2, v39
	v_add_nc_u32_e32 v3, v17, v16
	s_delay_alu instid0(VALU_DEP_1) | instskip(NEXT) | instid1(VALU_DEP_1)
	v_add3_u32 v3, v3, v14, v15
	v_add3_u32 v3, v3, v12, v13
	s_delay_alu instid0(VALU_DEP_1) | instskip(NEXT) | instid1(VALU_DEP_1)
	v_add3_u32 v3, v3, v10, v11
	v_add3_u32 v3, v3, v20, v21
	;; [unrolled: 3-line block ×3, first 2 shown]
	s_delay_alu instid0(VALU_DEP_1)
	v_add3_u32 v3, v3, v6, v7
	ds_store_b32 v39, v3
	s_wait_dscnt 0x0
	s_barrier_signal -1
	s_barrier_wait -1
	v_cmpx_gt_u32_e32 32, v0
	s_cbranch_execz .LBB4_2
; %bb.1:
	v_lshrrev_b32_e32 v7, 2, v0
	v_bfe_i32 v43, v1, 4, 1
	s_delay_alu instid0(VALU_DEP_2) | instskip(NEXT) | instid1(VALU_DEP_1)
	v_and_b32_e32 v7, 0xfc, v7
	v_lshl_add_u32 v7, v0, 3, v7
	ds_load_2addr_b32 v[40:41], v7 offset1:1
	; wave barrier
	s_wait_dscnt 0x0
	v_dual_add_nc_u32 v39, v41, v40 :: v_dual_bitop2_b32 v41, 15, v1 bitop3:0x40
	s_delay_alu instid0(VALU_DEP_1) | instskip(NEXT) | instid1(VALU_DEP_2)
	v_mov_b32_dpp v42, v39 row_shr:1 row_mask:0xf bank_mask:0xf
	v_cmp_ne_u32_e32 vcc_lo, 0, v41
	s_delay_alu instid0(VALU_DEP_2) | instskip(SKIP_1) | instid1(VALU_DEP_2)
	v_cndmask_b32_e32 v42, 0, v42, vcc_lo
	v_cmp_lt_u32_e32 vcc_lo, 1, v41
	v_add_nc_u32_e32 v39, v42, v39
	s_delay_alu instid0(VALU_DEP_1) | instskip(NEXT) | instid1(VALU_DEP_1)
	v_mov_b32_dpp v42, v39 row_shr:2 row_mask:0xf bank_mask:0xf
	v_cndmask_b32_e32 v42, 0, v42, vcc_lo
	v_cmp_lt_u32_e32 vcc_lo, 3, v41
	s_delay_alu instid0(VALU_DEP_2) | instskip(NEXT) | instid1(VALU_DEP_1)
	v_add_nc_u32_e32 v39, v39, v42
	v_mov_b32_dpp v42, v39 row_shr:4 row_mask:0xf bank_mask:0xf
	s_delay_alu instid0(VALU_DEP_1) | instskip(SKIP_1) | instid1(VALU_DEP_2)
	v_cndmask_b32_e32 v42, 0, v42, vcc_lo
	v_cmp_lt_u32_e32 vcc_lo, 7, v41
	v_add_nc_u32_e32 v39, v39, v42
	s_delay_alu instid0(VALU_DEP_1) | instskip(NEXT) | instid1(VALU_DEP_1)
	v_mov_b32_dpp v42, v39 row_shr:8 row_mask:0xf bank_mask:0xf
	v_dual_cndmask_b32 v41, 0, v42 :: v_dual_add_nc_u32 v42, -1, v1
	s_delay_alu instid0(VALU_DEP_1) | instskip(NEXT) | instid1(VALU_DEP_2)
	v_add_nc_u32_e32 v39, v39, v41
	v_cmp_gt_i32_e32 vcc_lo, 0, v42
	ds_swizzle_b32 v41, v39 offset:swizzle(BROADCAST,32,15)
	v_cndmask_b32_e32 v1, v42, v1, vcc_lo
	v_cmp_eq_u32_e32 vcc_lo, 0, v0
	s_delay_alu instid0(VALU_DEP_2) | instskip(SKIP_2) | instid1(VALU_DEP_1)
	v_lshlrev_b32_e32 v1, 2, v1
	s_wait_dscnt 0x0
	v_and_b32_e32 v41, v43, v41
	v_add_nc_u32_e32 v39, v39, v41
	ds_bpermute_b32 v1, v1, v39
	s_wait_dscnt 0x0
	v_add_nc_u32_e32 v1, v1, v40
	s_delay_alu instid0(VALU_DEP_1)
	v_cndmask_b32_e32 v1, v1, v3, vcc_lo
	ds_store_b32 v7, v1
	; wave barrier
	ds_load_b32 v3, v7 offset:4
	s_wait_dscnt 0x0
	v_add_nc_u32_e32 v1, v3, v1
	ds_store_b32 v7, v1 offset:4
.LBB4_2:
	s_or_b32 exec_lo, exec_lo, s0
	s_delay_alu instid0(SALU_CYCLE_1)
	s_mov_b32 s1, exec_lo
	v_cmp_eq_u32_e32 vcc_lo, 0, v0
	s_wait_dscnt 0x0
	s_barrier_signal -1
	s_barrier_wait -1
	v_cmpx_ne_u32_e32 0, v0
	s_cbranch_execz .LBB4_4
; %bb.3:
	v_add_nc_u32_e32 v0, -1, v0
	s_delay_alu instid0(VALU_DEP_1) | instskip(NEXT) | instid1(VALU_DEP_1)
	v_lshrrev_b32_e32 v1, 3, v0
	v_and_b32_e32 v1, 0x1ffffffc, v1
	s_delay_alu instid0(VALU_DEP_1)
	v_lshl_add_u32 v0, v0, 2, v1
	ds_load_b32 v5, v0
.LBB4_4:
	s_or_b32 exec_lo, exec_lo, s1
	s_wait_dscnt 0x0
	v_dual_add_nc_u32 v1, v5, v16 :: v_dual_mov_b32 v3, 0
	s_delay_alu instid0(VALU_DEP_1)
	v_add_nc_u32_e32 v7, v1, v17
	ds_load_b32 v0, v3 offset:256
	s_wait_dscnt 0x0
	s_barrier_signal -1
	s_barrier_wait -1
	v_add_nc_u32_e32 v14, v7, v14
	ds_store_2addr_b32 v22, v5, v1 offset1:1
	v_dual_mov_b32 v5, v3 :: v_dual_add_nc_u32 v15, v14, v15
	s_delay_alu instid0(VALU_DEP_1) | instskip(NEXT) | instid1(VALU_DEP_1)
	v_add_nc_u32_e32 v12, v15, v12
	v_add_nc_u32_e32 v13, v12, v13
	s_delay_alu instid0(VALU_DEP_1) | instskip(NEXT) | instid1(VALU_DEP_1)
	v_add_nc_u32_e32 v16, v13, v10
	v_add_nc_u32_e32 v17, v16, v11
	v_add_nc_u64_e32 v[10:11], s[2:3], v[2:3]
	s_delay_alu instid0(VALU_DEP_2) | instskip(NEXT) | instid1(VALU_DEP_2)
	v_add_nc_u32_e32 v20, v17, v20
	v_add_nc_u64_e32 v[4:5], v[10:11], v[4:5]
	s_delay_alu instid0(VALU_DEP_2) | instskip(NEXT) | instid1(VALU_DEP_1)
	v_add_nc_u32_e32 v21, v20, v21
	v_add_nc_u32_e32 v18, v21, v18
	s_delay_alu instid0(VALU_DEP_1) | instskip(NEXT) | instid1(VALU_DEP_1)
	v_add_nc_u32_e32 v19, v18, v19
	v_add_nc_u32_e32 v8, v19, v8
	s_delay_alu instid0(VALU_DEP_1) | instskip(NEXT) | instid1(VALU_DEP_1)
	v_add_nc_u32_e32 v1, v8, v9
	v_add_nc_u32_e32 v2, v1, v6
	ds_store_2addr_b32 v22, v7, v14 offset0:2 offset1:3
	ds_store_2addr_b32 v22, v15, v12 offset0:4 offset1:5
	;; [unrolled: 1-line block ×7, first 2 shown]
	; wave barrier
	ds_load_b32 v1, v23
	ds_load_b32 v2, v24 offset:128
	ds_load_b32 v6, v25 offset:256
	;; [unrolled: 1-line block ×15, first 2 shown]
	s_wait_dscnt 0xf
	global_store_b32 v[4:5], v1, off
	s_wait_dscnt 0xe
	global_store_b32 v[4:5], v2, off offset:128
	s_wait_dscnt 0xd
	global_store_b32 v[4:5], v6, off offset:256
	;; [unrolled: 2-line block ×15, first 2 shown]
	s_wait_xcnt 0x0
	s_and_saveexec_b32 s0, vcc_lo
	s_cbranch_execz .LBB4_6
; %bb.5:
	global_store_b32 v3, v0, s[2:3] offset:4096
.LBB4_6:
	s_endpgm
	.section	.rodata,"a",@progbits
	.p2align	6, 0x0
	.amdhsa_kernel _Z20BlockPrefixSumKernelILi64ELi16ELN6hipcub16HIPCUB_304000_NS18BlockScanAlgorithmE1EEvPKiPi
		.amdhsa_group_segment_fixed_size 4224
		.amdhsa_private_segment_fixed_size 0
		.amdhsa_kernarg_size 16
		.amdhsa_user_sgpr_count 2
		.amdhsa_user_sgpr_dispatch_ptr 0
		.amdhsa_user_sgpr_queue_ptr 0
		.amdhsa_user_sgpr_kernarg_segment_ptr 1
		.amdhsa_user_sgpr_dispatch_id 0
		.amdhsa_user_sgpr_kernarg_preload_length 0
		.amdhsa_user_sgpr_kernarg_preload_offset 0
		.amdhsa_user_sgpr_private_segment_size 0
		.amdhsa_wavefront_size32 1
		.amdhsa_uses_dynamic_stack 0
		.amdhsa_enable_private_segment 0
		.amdhsa_system_sgpr_workgroup_id_x 1
		.amdhsa_system_sgpr_workgroup_id_y 0
		.amdhsa_system_sgpr_workgroup_id_z 0
		.amdhsa_system_sgpr_workgroup_info 0
		.amdhsa_system_vgpr_workitem_id 0
		.amdhsa_next_free_vgpr 44
		.amdhsa_next_free_sgpr 4
		.amdhsa_named_barrier_count 0
		.amdhsa_reserve_vcc 1
		.amdhsa_float_round_mode_32 0
		.amdhsa_float_round_mode_16_64 0
		.amdhsa_float_denorm_mode_32 3
		.amdhsa_float_denorm_mode_16_64 3
		.amdhsa_fp16_overflow 0
		.amdhsa_memory_ordered 1
		.amdhsa_forward_progress 1
		.amdhsa_inst_pref_size 16
		.amdhsa_round_robin_scheduling 0
		.amdhsa_exception_fp_ieee_invalid_op 0
		.amdhsa_exception_fp_denorm_src 0
		.amdhsa_exception_fp_ieee_div_zero 0
		.amdhsa_exception_fp_ieee_overflow 0
		.amdhsa_exception_fp_ieee_underflow 0
		.amdhsa_exception_fp_ieee_inexact 0
		.amdhsa_exception_int_div_zero 0
	.end_amdhsa_kernel
	.section	.text._Z20BlockPrefixSumKernelILi64ELi16ELN6hipcub16HIPCUB_304000_NS18BlockScanAlgorithmE1EEvPKiPi,"axG",@progbits,_Z20BlockPrefixSumKernelILi64ELi16ELN6hipcub16HIPCUB_304000_NS18BlockScanAlgorithmE1EEvPKiPi,comdat
.Lfunc_end4:
	.size	_Z20BlockPrefixSumKernelILi64ELi16ELN6hipcub16HIPCUB_304000_NS18BlockScanAlgorithmE1EEvPKiPi, .Lfunc_end4-_Z20BlockPrefixSumKernelILi64ELi16ELN6hipcub16HIPCUB_304000_NS18BlockScanAlgorithmE1EEvPKiPi
                                        ; -- End function
	.set _Z20BlockPrefixSumKernelILi64ELi16ELN6hipcub16HIPCUB_304000_NS18BlockScanAlgorithmE1EEvPKiPi.num_vgpr, 44
	.set _Z20BlockPrefixSumKernelILi64ELi16ELN6hipcub16HIPCUB_304000_NS18BlockScanAlgorithmE1EEvPKiPi.num_agpr, 0
	.set _Z20BlockPrefixSumKernelILi64ELi16ELN6hipcub16HIPCUB_304000_NS18BlockScanAlgorithmE1EEvPKiPi.numbered_sgpr, 4
	.set _Z20BlockPrefixSumKernelILi64ELi16ELN6hipcub16HIPCUB_304000_NS18BlockScanAlgorithmE1EEvPKiPi.num_named_barrier, 0
	.set _Z20BlockPrefixSumKernelILi64ELi16ELN6hipcub16HIPCUB_304000_NS18BlockScanAlgorithmE1EEvPKiPi.private_seg_size, 0
	.set _Z20BlockPrefixSumKernelILi64ELi16ELN6hipcub16HIPCUB_304000_NS18BlockScanAlgorithmE1EEvPKiPi.uses_vcc, 1
	.set _Z20BlockPrefixSumKernelILi64ELi16ELN6hipcub16HIPCUB_304000_NS18BlockScanAlgorithmE1EEvPKiPi.uses_flat_scratch, 0
	.set _Z20BlockPrefixSumKernelILi64ELi16ELN6hipcub16HIPCUB_304000_NS18BlockScanAlgorithmE1EEvPKiPi.has_dyn_sized_stack, 0
	.set _Z20BlockPrefixSumKernelILi64ELi16ELN6hipcub16HIPCUB_304000_NS18BlockScanAlgorithmE1EEvPKiPi.has_recursion, 0
	.set _Z20BlockPrefixSumKernelILi64ELi16ELN6hipcub16HIPCUB_304000_NS18BlockScanAlgorithmE1EEvPKiPi.has_indirect_call, 0
	.section	.AMDGPU.csdata,"",@progbits
; Kernel info:
; codeLenInByte = 1980
; TotalNumSgprs: 6
; NumVgprs: 44
; ScratchSize: 0
; MemoryBound: 0
; FloatMode: 240
; IeeeMode: 1
; LDSByteSize: 4224 bytes/workgroup (compile time only)
; SGPRBlocks: 0
; VGPRBlocks: 2
; NumSGPRsForWavesPerEU: 6
; NumVGPRsForWavesPerEU: 44
; NamedBarCnt: 0
; Occupancy: 16
; WaveLimiterHint : 1
; COMPUTE_PGM_RSRC2:SCRATCH_EN: 0
; COMPUTE_PGM_RSRC2:USER_SGPR: 2
; COMPUTE_PGM_RSRC2:TRAP_HANDLER: 0
; COMPUTE_PGM_RSRC2:TGID_X_EN: 1
; COMPUTE_PGM_RSRC2:TGID_Y_EN: 0
; COMPUTE_PGM_RSRC2:TGID_Z_EN: 0
; COMPUTE_PGM_RSRC2:TIDIG_COMP_CNT: 0
	.section	.text._Z20BlockPrefixSumKernelILi1024ELi1ELN6hipcub16HIPCUB_304000_NS18BlockScanAlgorithmE0EEvPKiPi,"axG",@progbits,_Z20BlockPrefixSumKernelILi1024ELi1ELN6hipcub16HIPCUB_304000_NS18BlockScanAlgorithmE0EEvPKiPi,comdat
	.protected	_Z20BlockPrefixSumKernelILi1024ELi1ELN6hipcub16HIPCUB_304000_NS18BlockScanAlgorithmE0EEvPKiPi ; -- Begin function _Z20BlockPrefixSumKernelILi1024ELi1ELN6hipcub16HIPCUB_304000_NS18BlockScanAlgorithmE0EEvPKiPi
	.globl	_Z20BlockPrefixSumKernelILi1024ELi1ELN6hipcub16HIPCUB_304000_NS18BlockScanAlgorithmE0EEvPKiPi
	.p2align	8
	.type	_Z20BlockPrefixSumKernelILi1024ELi1ELN6hipcub16HIPCUB_304000_NS18BlockScanAlgorithmE0EEvPKiPi,@function
_Z20BlockPrefixSumKernelILi1024ELi1ELN6hipcub16HIPCUB_304000_NS18BlockScanAlgorithmE0EEvPKiPi: ; @_Z20BlockPrefixSumKernelILi1024ELi1ELN6hipcub16HIPCUB_304000_NS18BlockScanAlgorithmE0EEvPKiPi
; %bb.0:
	s_load_b128 s[4:7], s[0:1], 0x0
	v_mbcnt_lo_u32_b32 v6, -1, 0
	v_mov_b32_e32 v3, 0
	v_and_b32_e32 v1, 0x3e0, v0
	s_delay_alu instid0(VALU_DEP_2) | instskip(NEXT) | instid1(VALU_DEP_2)
	v_dual_mov_b32 v5, v3 :: v_dual_lshlrev_b32 v2, 2, v6
	v_lshlrev_b32_e32 v4, 2, v1
	s_delay_alu instid0(VALU_DEP_1) | instskip(SKIP_3) | instid1(VALU_DEP_1)
	v_or_b32_e32 v1, v2, v4
	s_wait_kmcnt 0x0
	v_add_nc_u64_e32 v[8:9], s[4:5], v[2:3]
	s_mov_b32 s5, exec_lo
	v_add_nc_u64_e32 v[8:9], v[8:9], v[4:5]
	v_and_b32_e32 v5, 15, v6
	s_delay_alu instid0(VALU_DEP_1) | instskip(SKIP_4) | instid1(VALU_DEP_1)
	v_cmp_eq_u32_e32 vcc_lo, 0, v5
	global_load_b32 v3, v[8:9], off
	v_cmp_lt_u32_e64 s0, 1, v5
	s_wait_xcnt 0x0
	v_and_b32_e32 v8, 16, v6
	v_cmp_eq_u32_e64 s3, 0, v8
	s_wait_loadcnt 0x0
	ds_store_b32 v1, v3
	; wave barrier
	ds_load_b32 v3, v1
	s_wait_dscnt 0x0
	s_barrier_signal -1
	s_barrier_wait -1
	v_mov_b32_dpp v7, v3 row_shr:1 row_mask:0xf bank_mask:0xf
	s_delay_alu instid0(VALU_DEP_1) | instskip(NEXT) | instid1(VALU_DEP_1)
	v_cndmask_b32_e64 v7, v7, 0, vcc_lo
	v_add_nc_u32_e32 v3, v7, v3
	s_delay_alu instid0(VALU_DEP_1) | instskip(NEXT) | instid1(VALU_DEP_1)
	v_mov_b32_dpp v7, v3 row_shr:2 row_mask:0xf bank_mask:0xf
	v_cndmask_b32_e64 v7, 0, v7, s0
	v_cmp_lt_u32_e64 s1, 3, v5
	v_cmp_lt_u32_e64 s2, 7, v5
	s_delay_alu instid0(VALU_DEP_3) | instskip(NEXT) | instid1(VALU_DEP_1)
	v_add_nc_u32_e32 v3, v3, v7
	v_mov_b32_dpp v7, v3 row_shr:4 row_mask:0xf bank_mask:0xf
	s_delay_alu instid0(VALU_DEP_1) | instskip(NEXT) | instid1(VALU_DEP_1)
	v_cndmask_b32_e64 v7, 0, v7, s1
	v_add_nc_u32_e32 v3, v3, v7
	s_delay_alu instid0(VALU_DEP_1) | instskip(NEXT) | instid1(VALU_DEP_1)
	v_mov_b32_dpp v7, v3 row_shr:8 row_mask:0xf bank_mask:0xf
	v_cndmask_b32_e64 v5, 0, v7, s2
	v_bfe_i32 v7, v6, 4, 1
	s_delay_alu instid0(VALU_DEP_2) | instskip(SKIP_3) | instid1(VALU_DEP_1)
	v_add_nc_u32_e32 v3, v3, v5
	ds_swizzle_b32 v5, v3 offset:swizzle(BROADCAST,32,15)
	s_wait_dscnt 0x0
	v_dual_lshrrev_b32 v7, 5, v0 :: v_dual_bitop2_b32 v5, v7, v5 bitop3:0x40
	v_dual_add_nc_u32 v5, v3, v5 :: v_dual_bitop2_b32 v9, 31, v0 bitop3:0x40
	s_delay_alu instid0(VALU_DEP_1)
	v_cmpx_eq_u32_e32 31, v9
; %bb.1:
	s_delay_alu instid0(VALU_DEP_3)
	v_lshlrev_b32_e32 v3, 2, v7
	ds_store_b32 v3, v5
; %bb.2:
	s_or_b32 exec_lo, exec_lo, s5
	v_cmp_lt_u32_e64 s4, 31, v0
	s_mov_b32 s8, exec_lo
	s_wait_dscnt 0x0
	s_barrier_signal -1
	s_barrier_wait -1
	v_cmpx_gt_u32_e32 32, v0
	s_cbranch_execz .LBB5_4
; %bb.3:
	v_lshlrev_b32_e32 v3, 2, v0
	ds_load_b32 v8, v3
	s_wait_dscnt 0x0
	v_mov_b32_dpp v9, v8 row_shr:1 row_mask:0xf bank_mask:0xf
	s_delay_alu instid0(VALU_DEP_1) | instskip(NEXT) | instid1(VALU_DEP_1)
	v_cndmask_b32_e64 v9, v9, 0, vcc_lo
	v_add_nc_u32_e32 v8, v9, v8
	s_delay_alu instid0(VALU_DEP_1) | instskip(NEXT) | instid1(VALU_DEP_1)
	v_mov_b32_dpp v9, v8 row_shr:2 row_mask:0xf bank_mask:0xf
	v_cndmask_b32_e64 v9, 0, v9, s0
	s_delay_alu instid0(VALU_DEP_1) | instskip(NEXT) | instid1(VALU_DEP_1)
	v_add_nc_u32_e32 v8, v8, v9
	v_mov_b32_dpp v9, v8 row_shr:4 row_mask:0xf bank_mask:0xf
	s_delay_alu instid0(VALU_DEP_1) | instskip(NEXT) | instid1(VALU_DEP_1)
	v_cndmask_b32_e64 v9, 0, v9, s1
	v_add_nc_u32_e32 v8, v8, v9
	s_delay_alu instid0(VALU_DEP_1) | instskip(NEXT) | instid1(VALU_DEP_1)
	v_mov_b32_dpp v9, v8 row_shr:8 row_mask:0xf bank_mask:0xf
	v_cndmask_b32_e64 v9, 0, v9, s2
	s_delay_alu instid0(VALU_DEP_1) | instskip(SKIP_3) | instid1(VALU_DEP_1)
	v_add_nc_u32_e32 v8, v8, v9
	ds_swizzle_b32 v9, v8 offset:swizzle(BROADCAST,32,15)
	s_wait_dscnt 0x0
	v_cndmask_b32_e64 v9, v9, 0, s3
	v_add_nc_u32_e32 v8, v8, v9
	ds_store_b32 v3, v8
.LBB5_4:
	s_or_b32 exec_lo, exec_lo, s8
	v_dual_mov_b32 v3, 0 :: v_dual_mov_b32 v8, 0
	s_wait_dscnt 0x0
	s_barrier_signal -1
	s_barrier_wait -1
	s_and_saveexec_b32 s0, s4
; %bb.5:
	v_lshl_add_u32 v7, v7, 2, -4
	ds_load_b32 v8, v7
; %bb.6:
	s_or_b32 exec_lo, exec_lo, s0
	v_sub_co_u32 v7, vcc_lo, v6, 1
	s_wait_dscnt 0x0
	v_add_nc_u32_e32 v5, v8, v5
	s_delay_alu instid0(VALU_DEP_2) | instskip(NEXT) | instid1(VALU_DEP_1)
	v_cmp_gt_i32_e64 s0, 0, v7
	v_cndmask_b32_e64 v6, v7, v6, s0
	s_mov_b32 s0, exec_lo
	s_delay_alu instid0(VALU_DEP_1)
	v_lshlrev_b32_e32 v6, 2, v6
	ds_bpermute_b32 v5, v6, v5
	ds_load_b32 v6, v3 offset:124
	s_wait_dscnt 0x0
	s_barrier_signal -1
	s_barrier_wait -1
	v_cndmask_b32_e32 v5, v5, v8, vcc_lo
	v_add_nc_u64_e32 v[8:9], s[6:7], v[2:3]
	ds_store_b32 v1, v5
	; wave barrier
	ds_load_b32 v1, v1
	v_mov_b32_e32 v5, v3
	s_delay_alu instid0(VALU_DEP_1)
	v_add_nc_u64_e32 v[2:3], v[8:9], v[4:5]
	s_wait_dscnt 0x0
	global_store_b32 v[2:3], v1, off
	s_wait_xcnt 0x0
	v_cmpx_eq_u32_e32 0, v0
	s_cbranch_execz .LBB5_8
; %bb.7:
	v_mov_b32_e32 v0, 0
	global_store_b32 v0, v6, s[6:7] offset:4096
.LBB5_8:
	s_endpgm
	.section	.rodata,"a",@progbits
	.p2align	6, 0x0
	.amdhsa_kernel _Z20BlockPrefixSumKernelILi1024ELi1ELN6hipcub16HIPCUB_304000_NS18BlockScanAlgorithmE0EEvPKiPi
		.amdhsa_group_segment_fixed_size 4096
		.amdhsa_private_segment_fixed_size 0
		.amdhsa_kernarg_size 16
		.amdhsa_user_sgpr_count 2
		.amdhsa_user_sgpr_dispatch_ptr 0
		.amdhsa_user_sgpr_queue_ptr 0
		.amdhsa_user_sgpr_kernarg_segment_ptr 1
		.amdhsa_user_sgpr_dispatch_id 0
		.amdhsa_user_sgpr_kernarg_preload_length 0
		.amdhsa_user_sgpr_kernarg_preload_offset 0
		.amdhsa_user_sgpr_private_segment_size 0
		.amdhsa_wavefront_size32 1
		.amdhsa_uses_dynamic_stack 0
		.amdhsa_enable_private_segment 0
		.amdhsa_system_sgpr_workgroup_id_x 1
		.amdhsa_system_sgpr_workgroup_id_y 0
		.amdhsa_system_sgpr_workgroup_id_z 0
		.amdhsa_system_sgpr_workgroup_info 0
		.amdhsa_system_vgpr_workitem_id 0
		.amdhsa_next_free_vgpr 10
		.amdhsa_next_free_sgpr 9
		.amdhsa_named_barrier_count 0
		.amdhsa_reserve_vcc 1
		.amdhsa_float_round_mode_32 0
		.amdhsa_float_round_mode_16_64 0
		.amdhsa_float_denorm_mode_32 3
		.amdhsa_float_denorm_mode_16_64 3
		.amdhsa_fp16_overflow 0
		.amdhsa_memory_ordered 1
		.amdhsa_forward_progress 1
		.amdhsa_inst_pref_size 6
		.amdhsa_round_robin_scheduling 0
		.amdhsa_exception_fp_ieee_invalid_op 0
		.amdhsa_exception_fp_denorm_src 0
		.amdhsa_exception_fp_ieee_div_zero 0
		.amdhsa_exception_fp_ieee_overflow 0
		.amdhsa_exception_fp_ieee_underflow 0
		.amdhsa_exception_fp_ieee_inexact 0
		.amdhsa_exception_int_div_zero 0
	.end_amdhsa_kernel
	.section	.text._Z20BlockPrefixSumKernelILi1024ELi1ELN6hipcub16HIPCUB_304000_NS18BlockScanAlgorithmE0EEvPKiPi,"axG",@progbits,_Z20BlockPrefixSumKernelILi1024ELi1ELN6hipcub16HIPCUB_304000_NS18BlockScanAlgorithmE0EEvPKiPi,comdat
.Lfunc_end5:
	.size	_Z20BlockPrefixSumKernelILi1024ELi1ELN6hipcub16HIPCUB_304000_NS18BlockScanAlgorithmE0EEvPKiPi, .Lfunc_end5-_Z20BlockPrefixSumKernelILi1024ELi1ELN6hipcub16HIPCUB_304000_NS18BlockScanAlgorithmE0EEvPKiPi
                                        ; -- End function
	.set _Z20BlockPrefixSumKernelILi1024ELi1ELN6hipcub16HIPCUB_304000_NS18BlockScanAlgorithmE0EEvPKiPi.num_vgpr, 10
	.set _Z20BlockPrefixSumKernelILi1024ELi1ELN6hipcub16HIPCUB_304000_NS18BlockScanAlgorithmE0EEvPKiPi.num_agpr, 0
	.set _Z20BlockPrefixSumKernelILi1024ELi1ELN6hipcub16HIPCUB_304000_NS18BlockScanAlgorithmE0EEvPKiPi.numbered_sgpr, 9
	.set _Z20BlockPrefixSumKernelILi1024ELi1ELN6hipcub16HIPCUB_304000_NS18BlockScanAlgorithmE0EEvPKiPi.num_named_barrier, 0
	.set _Z20BlockPrefixSumKernelILi1024ELi1ELN6hipcub16HIPCUB_304000_NS18BlockScanAlgorithmE0EEvPKiPi.private_seg_size, 0
	.set _Z20BlockPrefixSumKernelILi1024ELi1ELN6hipcub16HIPCUB_304000_NS18BlockScanAlgorithmE0EEvPKiPi.uses_vcc, 1
	.set _Z20BlockPrefixSumKernelILi1024ELi1ELN6hipcub16HIPCUB_304000_NS18BlockScanAlgorithmE0EEvPKiPi.uses_flat_scratch, 0
	.set _Z20BlockPrefixSumKernelILi1024ELi1ELN6hipcub16HIPCUB_304000_NS18BlockScanAlgorithmE0EEvPKiPi.has_dyn_sized_stack, 0
	.set _Z20BlockPrefixSumKernelILi1024ELi1ELN6hipcub16HIPCUB_304000_NS18BlockScanAlgorithmE0EEvPKiPi.has_recursion, 0
	.set _Z20BlockPrefixSumKernelILi1024ELi1ELN6hipcub16HIPCUB_304000_NS18BlockScanAlgorithmE0EEvPKiPi.has_indirect_call, 0
	.section	.AMDGPU.csdata,"",@progbits
; Kernel info:
; codeLenInByte = 732
; TotalNumSgprs: 11
; NumVgprs: 10
; ScratchSize: 0
; MemoryBound: 0
; FloatMode: 240
; IeeeMode: 1
; LDSByteSize: 4096 bytes/workgroup (compile time only)
; SGPRBlocks: 0
; VGPRBlocks: 0
; NumSGPRsForWavesPerEU: 11
; NumVGPRsForWavesPerEU: 10
; NamedBarCnt: 0
; Occupancy: 16
; WaveLimiterHint : 0
; COMPUTE_PGM_RSRC2:SCRATCH_EN: 0
; COMPUTE_PGM_RSRC2:USER_SGPR: 2
; COMPUTE_PGM_RSRC2:TRAP_HANDLER: 0
; COMPUTE_PGM_RSRC2:TGID_X_EN: 1
; COMPUTE_PGM_RSRC2:TGID_Y_EN: 0
; COMPUTE_PGM_RSRC2:TGID_Z_EN: 0
; COMPUTE_PGM_RSRC2:TIDIG_COMP_CNT: 0
	.section	.text._Z20BlockPrefixSumKernelILi512ELi2ELN6hipcub16HIPCUB_304000_NS18BlockScanAlgorithmE0EEvPKiPi,"axG",@progbits,_Z20BlockPrefixSumKernelILi512ELi2ELN6hipcub16HIPCUB_304000_NS18BlockScanAlgorithmE0EEvPKiPi,comdat
	.protected	_Z20BlockPrefixSumKernelILi512ELi2ELN6hipcub16HIPCUB_304000_NS18BlockScanAlgorithmE0EEvPKiPi ; -- Begin function _Z20BlockPrefixSumKernelILi512ELi2ELN6hipcub16HIPCUB_304000_NS18BlockScanAlgorithmE0EEvPKiPi
	.globl	_Z20BlockPrefixSumKernelILi512ELi2ELN6hipcub16HIPCUB_304000_NS18BlockScanAlgorithmE0EEvPKiPi
	.p2align	8
	.type	_Z20BlockPrefixSumKernelILi512ELi2ELN6hipcub16HIPCUB_304000_NS18BlockScanAlgorithmE0EEvPKiPi,@function
_Z20BlockPrefixSumKernelILi512ELi2ELN6hipcub16HIPCUB_304000_NS18BlockScanAlgorithmE0EEvPKiPi: ; @_Z20BlockPrefixSumKernelILi512ELi2ELN6hipcub16HIPCUB_304000_NS18BlockScanAlgorithmE0EEvPKiPi
; %bb.0:
	s_load_b128 s[4:7], s[0:1], 0x0
	v_mbcnt_lo_u32_b32 v1, -1, 0
	v_dual_mov_b32 v3, 0 :: v_dual_lshlrev_b32 v4, 1, v0
	v_and_b32_e32 v11, 0x3e0, v0
	s_delay_alu instid0(VALU_DEP_3) | instskip(NEXT) | instid1(VALU_DEP_3)
	v_lshlrev_b32_e32 v2, 2, v1
	v_and_b32_e32 v8, 0x7c0, v4
	s_delay_alu instid0(VALU_DEP_1) | instskip(SKIP_1) | instid1(VALU_DEP_3)
	v_dual_mov_b32 v5, v3 :: v_dual_lshlrev_b32 v4, 2, v8
	s_wait_kmcnt 0x0
	v_add_nc_u64_e32 v[6:7], s[4:5], v[2:3]
	s_mov_b32 s4, exec_lo
	s_delay_alu instid0(VALU_DEP_1)
	v_add_nc_u64_e32 v[6:7], v[6:7], v[4:5]
	v_or_b32_e32 v5, v1, v8
	s_clause 0x1
	global_load_b32 v3, v[6:7], off
	global_load_b32 v10, v[6:7], off offset:128
	s_wait_xcnt 0x0
	v_dual_lshrrev_b32 v8, 3, v8 :: v_dual_bitop2_b32 v6, 32, v8 bitop3:0x54
	v_dual_lshlrev_b32 v9, 2, v5 :: v_dual_bitop2_b32 v7, v1, v11 bitop3:0x54
	v_min_u32_e32 v11, 0x1e0, v11
	s_delay_alu instid0(VALU_DEP_2) | instskip(SKIP_1) | instid1(VALU_DEP_2)
	v_dual_lshrrev_b32 v6, 3, v6 :: v_dual_lshlrev_b32 v12, 1, v7
	v_bfe_u32 v7, v7, 4, 27
	v_dual_add_nc_u32 v5, v8, v9 :: v_dual_add_nc_u32 v8, v6, v9
	s_delay_alu instid0(VALU_DEP_4)
	v_or_b32_e32 v11, 31, v11
	s_wait_loadcnt 0x1
	ds_store_b32 v5, v3
	s_wait_loadcnt 0x0
	ds_store_b32 v8, v10 offset:128
	v_add_lshl_u32 v9, v7, v12, 2
	; wave barrier
	ds_load_2addr_b32 v[6:7], v9 offset1:1
	s_wait_dscnt 0x0
	s_barrier_signal -1
	s_barrier_wait -1
	v_dual_add_nc_u32 v3, v7, v6 :: v_dual_bitop2_b32 v7, 15, v1 bitop3:0x40
	s_delay_alu instid0(VALU_DEP_1) | instskip(NEXT) | instid1(VALU_DEP_2)
	v_mov_b32_dpp v10, v3 row_shr:1 row_mask:0xf bank_mask:0xf
	v_cmp_eq_u32_e32 vcc_lo, 0, v7
	v_cmp_lt_u32_e64 s0, 1, v7
	v_cmp_lt_u32_e64 s1, 3, v7
	;; [unrolled: 1-line block ×3, first 2 shown]
	v_cndmask_b32_e64 v10, v10, 0, vcc_lo
	s_delay_alu instid0(VALU_DEP_1) | instskip(NEXT) | instid1(VALU_DEP_1)
	v_add_nc_u32_e32 v3, v10, v3
	v_mov_b32_dpp v10, v3 row_shr:2 row_mask:0xf bank_mask:0xf
	s_delay_alu instid0(VALU_DEP_1) | instskip(NEXT) | instid1(VALU_DEP_1)
	v_cndmask_b32_e64 v10, 0, v10, s0
	v_add_nc_u32_e32 v3, v3, v10
	s_delay_alu instid0(VALU_DEP_1) | instskip(NEXT) | instid1(VALU_DEP_1)
	v_mov_b32_dpp v10, v3 row_shr:4 row_mask:0xf bank_mask:0xf
	v_cndmask_b32_e64 v10, 0, v10, s1
	s_delay_alu instid0(VALU_DEP_1) | instskip(NEXT) | instid1(VALU_DEP_1)
	v_add_nc_u32_e32 v3, v3, v10
	v_mov_b32_dpp v10, v3 row_shr:8 row_mask:0xf bank_mask:0xf
	s_delay_alu instid0(VALU_DEP_1) | instskip(SKIP_1) | instid1(VALU_DEP_2)
	v_cndmask_b32_e64 v7, 0, v10, s2
	v_bfe_i32 v10, v1, 4, 1
	v_add_nc_u32_e32 v3, v3, v7
	ds_swizzle_b32 v7, v3 offset:swizzle(BROADCAST,32,15)
	s_wait_dscnt 0x0
	v_dual_lshrrev_b32 v10, 5, v0 :: v_dual_bitop2_b32 v7, v10, v7 bitop3:0x40
	s_delay_alu instid0(VALU_DEP_1)
	v_add_nc_u32_e32 v7, v3, v7
	v_cmpx_eq_u32_e64 v0, v11
; %bb.1:
	s_delay_alu instid0(VALU_DEP_3)
	v_lshlrev_b32_e32 v3, 2, v10
	ds_store_b32 v3, v7
; %bb.2:
	s_or_b32 exec_lo, exec_lo, s4
	s_delay_alu instid0(SALU_CYCLE_1)
	s_mov_b32 s4, exec_lo
	s_wait_dscnt 0x0
	s_barrier_signal -1
	s_barrier_wait -1
	v_cmpx_gt_u32_e32 16, v0
	s_cbranch_execz .LBB6_4
; %bb.3:
	v_lshlrev_b32_e32 v3, 2, v0
	ds_load_b32 v11, v3
	s_wait_dscnt 0x0
	v_mov_b32_dpp v12, v11 row_shr:1 row_mask:0xf bank_mask:0xf
	s_delay_alu instid0(VALU_DEP_1) | instskip(NEXT) | instid1(VALU_DEP_1)
	v_cndmask_b32_e64 v12, v12, 0, vcc_lo
	v_add_nc_u32_e32 v11, v12, v11
	s_delay_alu instid0(VALU_DEP_1) | instskip(NEXT) | instid1(VALU_DEP_1)
	v_mov_b32_dpp v12, v11 row_shr:2 row_mask:0xf bank_mask:0xf
	v_cndmask_b32_e64 v12, 0, v12, s0
	s_delay_alu instid0(VALU_DEP_1) | instskip(NEXT) | instid1(VALU_DEP_1)
	v_add_nc_u32_e32 v11, v11, v12
	v_mov_b32_dpp v12, v11 row_shr:4 row_mask:0xf bank_mask:0xf
	s_delay_alu instid0(VALU_DEP_1) | instskip(NEXT) | instid1(VALU_DEP_1)
	v_cndmask_b32_e64 v12, 0, v12, s1
	v_add_nc_u32_e32 v11, v11, v12
	s_delay_alu instid0(VALU_DEP_1) | instskip(NEXT) | instid1(VALU_DEP_1)
	v_mov_b32_dpp v12, v11 row_shr:8 row_mask:0xf bank_mask:0xf
	v_cndmask_b32_e64 v12, 0, v12, s2
	s_delay_alu instid0(VALU_DEP_1)
	v_add_nc_u32_e32 v11, v11, v12
	ds_store_b32 v3, v11
.LBB6_4:
	s_or_b32 exec_lo, exec_lo, s4
	v_dual_mov_b32 v3, 0 :: v_dual_mov_b32 v11, 0
	s_mov_b32 s0, exec_lo
	s_wait_dscnt 0x0
	s_barrier_signal -1
	s_barrier_wait -1
	v_cmpx_lt_u32_e32 31, v0
; %bb.5:
	v_lshl_add_u32 v10, v10, 2, -4
	ds_load_b32 v11, v10
; %bb.6:
	s_or_b32 exec_lo, exec_lo, s0
	v_sub_co_u32 v10, vcc_lo, v1, 1
	s_wait_dscnt 0x0
	v_add_nc_u32_e32 v7, v11, v7
	s_delay_alu instid0(VALU_DEP_2) | instskip(NEXT) | instid1(VALU_DEP_1)
	v_cmp_gt_i32_e64 s0, 0, v10
	v_cndmask_b32_e64 v1, v10, v1, s0
	s_delay_alu instid0(VALU_DEP_1)
	v_lshlrev_b32_e32 v1, 2, v1
	ds_bpermute_b32 v1, v1, v7
	s_wait_dscnt 0x0
	v_cndmask_b32_e32 v1, v1, v11, vcc_lo
	v_cmp_eq_u32_e32 vcc_lo, 0, v0
	ds_load_b32 v0, v3 offset:60
	s_wait_dscnt 0x0
	s_barrier_signal -1
	s_barrier_wait -1
	v_cndmask_b32_e64 v1, v1, 0, vcc_lo
	s_delay_alu instid0(VALU_DEP_1)
	v_add_nc_u32_e32 v6, v1, v6
	ds_store_2addr_b32 v9, v1, v6 offset1:1
	; wave barrier
	ds_load_b32 v1, v5
	ds_load_b32 v8, v8 offset:128
	v_add_nc_u64_e32 v[6:7], s[6:7], v[2:3]
	v_mov_b32_e32 v5, v3
	s_delay_alu instid0(VALU_DEP_1)
	v_add_nc_u64_e32 v[2:3], v[6:7], v[4:5]
	s_wait_dscnt 0x1
	global_store_b32 v[2:3], v1, off
	s_wait_dscnt 0x0
	global_store_b32 v[2:3], v8, off offset:128
	s_wait_xcnt 0x0
	s_and_saveexec_b32 s0, vcc_lo
	s_cbranch_execz .LBB6_8
; %bb.7:
	v_mov_b32_e32 v1, 0
	global_store_b32 v1, v0, s[6:7] offset:4096
.LBB6_8:
	s_endpgm
	.section	.rodata,"a",@progbits
	.p2align	6, 0x0
	.amdhsa_kernel _Z20BlockPrefixSumKernelILi512ELi2ELN6hipcub16HIPCUB_304000_NS18BlockScanAlgorithmE0EEvPKiPi
		.amdhsa_group_segment_fixed_size 4224
		.amdhsa_private_segment_fixed_size 0
		.amdhsa_kernarg_size 16
		.amdhsa_user_sgpr_count 2
		.amdhsa_user_sgpr_dispatch_ptr 0
		.amdhsa_user_sgpr_queue_ptr 0
		.amdhsa_user_sgpr_kernarg_segment_ptr 1
		.amdhsa_user_sgpr_dispatch_id 0
		.amdhsa_user_sgpr_kernarg_preload_length 0
		.amdhsa_user_sgpr_kernarg_preload_offset 0
		.amdhsa_user_sgpr_private_segment_size 0
		.amdhsa_wavefront_size32 1
		.amdhsa_uses_dynamic_stack 0
		.amdhsa_enable_private_segment 0
		.amdhsa_system_sgpr_workgroup_id_x 1
		.amdhsa_system_sgpr_workgroup_id_y 0
		.amdhsa_system_sgpr_workgroup_id_z 0
		.amdhsa_system_sgpr_workgroup_info 0
		.amdhsa_system_vgpr_workitem_id 0
		.amdhsa_next_free_vgpr 13
		.amdhsa_next_free_sgpr 8
		.amdhsa_named_barrier_count 0
		.amdhsa_reserve_vcc 1
		.amdhsa_float_round_mode_32 0
		.amdhsa_float_round_mode_16_64 0
		.amdhsa_float_denorm_mode_32 3
		.amdhsa_float_denorm_mode_16_64 3
		.amdhsa_fp16_overflow 0
		.amdhsa_memory_ordered 1
		.amdhsa_forward_progress 1
		.amdhsa_inst_pref_size 7
		.amdhsa_round_robin_scheduling 0
		.amdhsa_exception_fp_ieee_invalid_op 0
		.amdhsa_exception_fp_denorm_src 0
		.amdhsa_exception_fp_ieee_div_zero 0
		.amdhsa_exception_fp_ieee_overflow 0
		.amdhsa_exception_fp_ieee_underflow 0
		.amdhsa_exception_fp_ieee_inexact 0
		.amdhsa_exception_int_div_zero 0
	.end_amdhsa_kernel
	.section	.text._Z20BlockPrefixSumKernelILi512ELi2ELN6hipcub16HIPCUB_304000_NS18BlockScanAlgorithmE0EEvPKiPi,"axG",@progbits,_Z20BlockPrefixSumKernelILi512ELi2ELN6hipcub16HIPCUB_304000_NS18BlockScanAlgorithmE0EEvPKiPi,comdat
.Lfunc_end6:
	.size	_Z20BlockPrefixSumKernelILi512ELi2ELN6hipcub16HIPCUB_304000_NS18BlockScanAlgorithmE0EEvPKiPi, .Lfunc_end6-_Z20BlockPrefixSumKernelILi512ELi2ELN6hipcub16HIPCUB_304000_NS18BlockScanAlgorithmE0EEvPKiPi
                                        ; -- End function
	.set _Z20BlockPrefixSumKernelILi512ELi2ELN6hipcub16HIPCUB_304000_NS18BlockScanAlgorithmE0EEvPKiPi.num_vgpr, 13
	.set _Z20BlockPrefixSumKernelILi512ELi2ELN6hipcub16HIPCUB_304000_NS18BlockScanAlgorithmE0EEvPKiPi.num_agpr, 0
	.set _Z20BlockPrefixSumKernelILi512ELi2ELN6hipcub16HIPCUB_304000_NS18BlockScanAlgorithmE0EEvPKiPi.numbered_sgpr, 8
	.set _Z20BlockPrefixSumKernelILi512ELi2ELN6hipcub16HIPCUB_304000_NS18BlockScanAlgorithmE0EEvPKiPi.num_named_barrier, 0
	.set _Z20BlockPrefixSumKernelILi512ELi2ELN6hipcub16HIPCUB_304000_NS18BlockScanAlgorithmE0EEvPKiPi.private_seg_size, 0
	.set _Z20BlockPrefixSumKernelILi512ELi2ELN6hipcub16HIPCUB_304000_NS18BlockScanAlgorithmE0EEvPKiPi.uses_vcc, 1
	.set _Z20BlockPrefixSumKernelILi512ELi2ELN6hipcub16HIPCUB_304000_NS18BlockScanAlgorithmE0EEvPKiPi.uses_flat_scratch, 0
	.set _Z20BlockPrefixSumKernelILi512ELi2ELN6hipcub16HIPCUB_304000_NS18BlockScanAlgorithmE0EEvPKiPi.has_dyn_sized_stack, 0
	.set _Z20BlockPrefixSumKernelILi512ELi2ELN6hipcub16HIPCUB_304000_NS18BlockScanAlgorithmE0EEvPKiPi.has_recursion, 0
	.set _Z20BlockPrefixSumKernelILi512ELi2ELN6hipcub16HIPCUB_304000_NS18BlockScanAlgorithmE0EEvPKiPi.has_indirect_call, 0
	.section	.AMDGPU.csdata,"",@progbits
; Kernel info:
; codeLenInByte = 872
; TotalNumSgprs: 10
; NumVgprs: 13
; ScratchSize: 0
; MemoryBound: 0
; FloatMode: 240
; IeeeMode: 1
; LDSByteSize: 4224 bytes/workgroup (compile time only)
; SGPRBlocks: 0
; VGPRBlocks: 0
; NumSGPRsForWavesPerEU: 10
; NumVGPRsForWavesPerEU: 13
; NamedBarCnt: 0
; Occupancy: 16
; WaveLimiterHint : 1
; COMPUTE_PGM_RSRC2:SCRATCH_EN: 0
; COMPUTE_PGM_RSRC2:USER_SGPR: 2
; COMPUTE_PGM_RSRC2:TRAP_HANDLER: 0
; COMPUTE_PGM_RSRC2:TGID_X_EN: 1
; COMPUTE_PGM_RSRC2:TGID_Y_EN: 0
; COMPUTE_PGM_RSRC2:TGID_Z_EN: 0
; COMPUTE_PGM_RSRC2:TIDIG_COMP_CNT: 0
	.section	.text._Z20BlockPrefixSumKernelILi256ELi4ELN6hipcub16HIPCUB_304000_NS18BlockScanAlgorithmE0EEvPKiPi,"axG",@progbits,_Z20BlockPrefixSumKernelILi256ELi4ELN6hipcub16HIPCUB_304000_NS18BlockScanAlgorithmE0EEvPKiPi,comdat
	.protected	_Z20BlockPrefixSumKernelILi256ELi4ELN6hipcub16HIPCUB_304000_NS18BlockScanAlgorithmE0EEvPKiPi ; -- Begin function _Z20BlockPrefixSumKernelILi256ELi4ELN6hipcub16HIPCUB_304000_NS18BlockScanAlgorithmE0EEvPKiPi
	.globl	_Z20BlockPrefixSumKernelILi256ELi4ELN6hipcub16HIPCUB_304000_NS18BlockScanAlgorithmE0EEvPKiPi
	.p2align	8
	.type	_Z20BlockPrefixSumKernelILi256ELi4ELN6hipcub16HIPCUB_304000_NS18BlockScanAlgorithmE0EEvPKiPi,@function
_Z20BlockPrefixSumKernelILi256ELi4ELN6hipcub16HIPCUB_304000_NS18BlockScanAlgorithmE0EEvPKiPi: ; @_Z20BlockPrefixSumKernelILi256ELi4ELN6hipcub16HIPCUB_304000_NS18BlockScanAlgorithmE0EEvPKiPi
; %bb.0:
	s_load_b128 s[0:3], s[0:1], 0x0
	v_mbcnt_lo_u32_b32 v1, -1, 0
	v_dual_lshlrev_b32 v13, 2, v0 :: v_dual_mov_b32 v3, 0
	v_and_b32_e32 v17, 0x3e0, v0
	s_delay_alu instid0(VALU_DEP_3) | instskip(NEXT) | instid1(VALU_DEP_3)
	v_lshlrev_b32_e32 v2, 2, v1
	v_and_b32_e32 v8, 0xf80, v13
	s_delay_alu instid0(VALU_DEP_1) | instskip(SKIP_1) | instid1(VALU_DEP_3)
	v_dual_mov_b32 v5, v3 :: v_dual_lshlrev_b32 v4, 2, v8
	s_wait_kmcnt 0x0
	v_add_nc_u64_e32 v[6:7], s[0:1], v[2:3]
	s_mov_b32 s0, exec_lo
	s_delay_alu instid0(VALU_DEP_1)
	v_add_nc_u64_e32 v[6:7], v[6:7], v[4:5]
	v_or_b32_e32 v5, v1, v17
	v_or_b32_e32 v10, 32, v8
	s_clause 0x3
	global_load_b32 v3, v[6:7], off
	global_load_b32 v9, v[6:7], off offset:128
	global_load_b32 v15, v[6:7], off offset:256
	;; [unrolled: 1-line block ×3, first 2 shown]
	s_wait_xcnt 0x0
	v_dual_lshrrev_b32 v7, 3, v8 :: v_dual_bitop2_b32 v6, v1, v8 bitop3:0x54
	v_or_b32_e32 v11, 64, v8
	v_or_b32_e32 v8, 0x60, v8
	s_delay_alu instid0(VALU_DEP_3) | instskip(SKIP_1) | instid1(VALU_DEP_4)
	v_dual_lshlrev_b32 v14, 2, v5 :: v_dual_lshlrev_b32 v6, 2, v6
	v_bfe_u32 v18, v5, 3, 27
	v_dual_lshrrev_b32 v10, 3, v10 :: v_dual_lshrrev_b32 v11, 3, v11
	s_delay_alu instid0(VALU_DEP_3) | instskip(NEXT) | instid1(VALU_DEP_3)
	v_dual_lshrrev_b32 v8, 3, v8 :: v_dual_add_nc_u32 v5, v7, v6
	v_add_lshl_u32 v14, v18, v14, 2
	s_delay_alu instid0(VALU_DEP_3) | instskip(NEXT) | instid1(VALU_DEP_3)
	v_dual_add_nc_u32 v10, v10, v6 :: v_dual_add_nc_u32 v11, v11, v6
	v_add_nc_u32_e32 v12, v8, v6
	s_wait_loadcnt 0x3
	ds_store_b32 v5, v3
	s_wait_loadcnt 0x2
	ds_store_b32 v10, v9 offset:128
	s_wait_loadcnt 0x1
	ds_store_b32 v11, v15 offset:256
	;; [unrolled: 2-line block ×3, first 2 shown]
	; wave barrier
	ds_load_2addr_b32 v[8:9], v14 offset1:1
	ds_load_2addr_b32 v[6:7], v14 offset0:2 offset1:3
	v_min_u32_e32 v16, 0xe0, v17
	s_wait_dscnt 0x0
	s_barrier_signal -1
	s_barrier_wait -1
	s_delay_alu instid0(VALU_DEP_1) | instskip(SKIP_1) | instid1(VALU_DEP_1)
	v_or_b32_e32 v16, 31, v16
	v_add_nc_u32_e32 v3, v9, v8
	v_add3_u32 v3, v3, v6, v7
	s_delay_alu instid0(VALU_DEP_1) | instskip(SKIP_1) | instid1(VALU_DEP_1)
	v_mov_b32_dpp v15, v3 row_shr:1 row_mask:0xf bank_mask:0xf
	v_and_b32_e32 v7, 15, v1
	v_cmp_ne_u32_e32 vcc_lo, 0, v7
	s_delay_alu instid0(VALU_DEP_3) | instskip(SKIP_1) | instid1(VALU_DEP_2)
	v_cndmask_b32_e32 v15, 0, v15, vcc_lo
	v_cmp_lt_u32_e32 vcc_lo, 1, v7
	v_add_nc_u32_e32 v3, v15, v3
	s_delay_alu instid0(VALU_DEP_1) | instskip(NEXT) | instid1(VALU_DEP_1)
	v_mov_b32_dpp v15, v3 row_shr:2 row_mask:0xf bank_mask:0xf
	v_cndmask_b32_e32 v15, 0, v15, vcc_lo
	v_cmp_lt_u32_e32 vcc_lo, 3, v7
	s_delay_alu instid0(VALU_DEP_2) | instskip(NEXT) | instid1(VALU_DEP_1)
	v_add_nc_u32_e32 v3, v3, v15
	v_mov_b32_dpp v15, v3 row_shr:4 row_mask:0xf bank_mask:0xf
	s_delay_alu instid0(VALU_DEP_1) | instskip(SKIP_1) | instid1(VALU_DEP_2)
	v_cndmask_b32_e32 v15, 0, v15, vcc_lo
	v_cmp_lt_u32_e32 vcc_lo, 7, v7
	v_add_nc_u32_e32 v3, v3, v15
	s_delay_alu instid0(VALU_DEP_1) | instskip(NEXT) | instid1(VALU_DEP_1)
	v_mov_b32_dpp v15, v3 row_shr:8 row_mask:0xf bank_mask:0xf
	v_cndmask_b32_e32 v7, 0, v15, vcc_lo
	v_bfe_i32 v15, v1, 4, 1
	s_delay_alu instid0(VALU_DEP_2) | instskip(SKIP_3) | instid1(VALU_DEP_1)
	v_add_nc_u32_e32 v3, v3, v7
	ds_swizzle_b32 v7, v3 offset:swizzle(BROADCAST,32,15)
	s_wait_dscnt 0x0
	v_dual_lshrrev_b32 v15, 5, v0 :: v_dual_bitop2_b32 v7, v15, v7 bitop3:0x40
	v_add_nc_u32_e32 v7, v3, v7
	v_cmpx_eq_u32_e64 v0, v16
; %bb.1:
	s_delay_alu instid0(VALU_DEP_3)
	v_lshlrev_b32_e32 v3, 2, v15
	ds_store_b32 v3, v7
; %bb.2:
	s_or_b32 exec_lo, exec_lo, s0
	s_delay_alu instid0(SALU_CYCLE_1)
	s_mov_b32 s0, exec_lo
	s_wait_dscnt 0x0
	s_barrier_signal -1
	s_barrier_wait -1
	v_cmpx_gt_u32_e32 8, v0
	s_cbranch_execz .LBB7_4
; %bb.3:
	ds_load_b32 v3, v13
	v_and_b32_e32 v16, 7, v1
	s_delay_alu instid0(VALU_DEP_1) | instskip(SKIP_2) | instid1(VALU_DEP_1)
	v_cmp_ne_u32_e32 vcc_lo, 0, v16
	s_wait_dscnt 0x0
	v_mov_b32_dpp v17, v3 row_shr:1 row_mask:0xf bank_mask:0xf
	v_cndmask_b32_e32 v17, 0, v17, vcc_lo
	s_delay_alu instid0(VALU_DEP_1) | instskip(SKIP_1) | instid1(VALU_DEP_2)
	v_add_nc_u32_e32 v3, v17, v3
	v_cmp_lt_u32_e32 vcc_lo, 1, v16
	v_mov_b32_dpp v17, v3 row_shr:2 row_mask:0xf bank_mask:0xf
	s_delay_alu instid0(VALU_DEP_1) | instskip(SKIP_1) | instid1(VALU_DEP_2)
	v_cndmask_b32_e32 v17, 0, v17, vcc_lo
	v_cmp_lt_u32_e32 vcc_lo, 3, v16
	v_add_nc_u32_e32 v3, v3, v17
	s_delay_alu instid0(VALU_DEP_1) | instskip(NEXT) | instid1(VALU_DEP_1)
	v_mov_b32_dpp v17, v3 row_shr:4 row_mask:0xf bank_mask:0xf
	v_cndmask_b32_e32 v16, 0, v17, vcc_lo
	s_delay_alu instid0(VALU_DEP_1)
	v_add_nc_u32_e32 v3, v3, v16
	ds_store_b32 v13, v3
.LBB7_4:
	s_or_b32 exec_lo, exec_lo, s0
	v_dual_mov_b32 v3, 0 :: v_dual_mov_b32 v13, 0
	s_mov_b32 s0, exec_lo
	s_wait_dscnt 0x0
	s_barrier_signal -1
	s_barrier_wait -1
	v_cmpx_lt_u32_e32 31, v0
; %bb.5:
	v_lshl_add_u32 v13, v15, 2, -4
	ds_load_b32 v13, v13
; %bb.6:
	s_or_b32 exec_lo, exec_lo, s0
	v_sub_co_u32 v15, vcc_lo, v1, 1
	s_wait_dscnt 0x0
	v_add_nc_u32_e32 v7, v13, v7
	s_delay_alu instid0(VALU_DEP_2) | instskip(NEXT) | instid1(VALU_DEP_1)
	v_cmp_gt_i32_e64 s0, 0, v15
	v_cndmask_b32_e64 v1, v15, v1, s0
	s_delay_alu instid0(VALU_DEP_1)
	v_lshlrev_b32_e32 v1, 2, v1
	ds_bpermute_b32 v1, v1, v7
	s_wait_dscnt 0x0
	v_cndmask_b32_e32 v1, v1, v13, vcc_lo
	v_cmp_eq_u32_e32 vcc_lo, 0, v0
	ds_load_b32 v0, v3 offset:28
	s_wait_dscnt 0x0
	s_barrier_signal -1
	s_barrier_wait -1
	v_cndmask_b32_e64 v1, v1, 0, vcc_lo
	s_delay_alu instid0(VALU_DEP_1) | instskip(NEXT) | instid1(VALU_DEP_1)
	v_add_nc_u32_e32 v7, v1, v8
	v_add_nc_u32_e32 v8, v7, v9
	s_delay_alu instid0(VALU_DEP_1)
	v_add_nc_u32_e32 v6, v8, v6
	ds_store_2addr_b32 v14, v1, v7 offset1:1
	ds_store_2addr_b32 v14, v8, v6 offset0:2 offset1:3
	; wave barrier
	ds_load_b32 v1, v5
	ds_load_b32 v8, v10 offset:128
	ds_load_b32 v9, v11 offset:256
	;; [unrolled: 1-line block ×3, first 2 shown]
	v_add_nc_u64_e32 v[6:7], s[2:3], v[2:3]
	v_mov_b32_e32 v5, v3
	s_delay_alu instid0(VALU_DEP_1)
	v_add_nc_u64_e32 v[2:3], v[6:7], v[4:5]
	s_wait_dscnt 0x3
	global_store_b32 v[2:3], v1, off
	s_wait_dscnt 0x2
	global_store_b32 v[2:3], v8, off offset:128
	s_wait_dscnt 0x1
	global_store_b32 v[2:3], v9, off offset:256
	;; [unrolled: 2-line block ×3, first 2 shown]
	s_wait_xcnt 0x0
	s_and_saveexec_b32 s0, vcc_lo
	s_cbranch_execz .LBB7_8
; %bb.7:
	v_mov_b32_e32 v1, 0
	global_store_b32 v1, v0, s[2:3] offset:4096
.LBB7_8:
	s_endpgm
	.section	.rodata,"a",@progbits
	.p2align	6, 0x0
	.amdhsa_kernel _Z20BlockPrefixSumKernelILi256ELi4ELN6hipcub16HIPCUB_304000_NS18BlockScanAlgorithmE0EEvPKiPi
		.amdhsa_group_segment_fixed_size 4224
		.amdhsa_private_segment_fixed_size 0
		.amdhsa_kernarg_size 16
		.amdhsa_user_sgpr_count 2
		.amdhsa_user_sgpr_dispatch_ptr 0
		.amdhsa_user_sgpr_queue_ptr 0
		.amdhsa_user_sgpr_kernarg_segment_ptr 1
		.amdhsa_user_sgpr_dispatch_id 0
		.amdhsa_user_sgpr_kernarg_preload_length 0
		.amdhsa_user_sgpr_kernarg_preload_offset 0
		.amdhsa_user_sgpr_private_segment_size 0
		.amdhsa_wavefront_size32 1
		.amdhsa_uses_dynamic_stack 0
		.amdhsa_enable_private_segment 0
		.amdhsa_system_sgpr_workgroup_id_x 1
		.amdhsa_system_sgpr_workgroup_id_y 0
		.amdhsa_system_sgpr_workgroup_id_z 0
		.amdhsa_system_sgpr_workgroup_info 0
		.amdhsa_system_vgpr_workitem_id 0
		.amdhsa_next_free_vgpr 19
		.amdhsa_next_free_sgpr 4
		.amdhsa_named_barrier_count 0
		.amdhsa_reserve_vcc 1
		.amdhsa_float_round_mode_32 0
		.amdhsa_float_round_mode_16_64 0
		.amdhsa_float_denorm_mode_32 3
		.amdhsa_float_denorm_mode_16_64 3
		.amdhsa_fp16_overflow 0
		.amdhsa_memory_ordered 1
		.amdhsa_forward_progress 1
		.amdhsa_inst_pref_size 8
		.amdhsa_round_robin_scheduling 0
		.amdhsa_exception_fp_ieee_invalid_op 0
		.amdhsa_exception_fp_denorm_src 0
		.amdhsa_exception_fp_ieee_div_zero 0
		.amdhsa_exception_fp_ieee_overflow 0
		.amdhsa_exception_fp_ieee_underflow 0
		.amdhsa_exception_fp_ieee_inexact 0
		.amdhsa_exception_int_div_zero 0
	.end_amdhsa_kernel
	.section	.text._Z20BlockPrefixSumKernelILi256ELi4ELN6hipcub16HIPCUB_304000_NS18BlockScanAlgorithmE0EEvPKiPi,"axG",@progbits,_Z20BlockPrefixSumKernelILi256ELi4ELN6hipcub16HIPCUB_304000_NS18BlockScanAlgorithmE0EEvPKiPi,comdat
.Lfunc_end7:
	.size	_Z20BlockPrefixSumKernelILi256ELi4ELN6hipcub16HIPCUB_304000_NS18BlockScanAlgorithmE0EEvPKiPi, .Lfunc_end7-_Z20BlockPrefixSumKernelILi256ELi4ELN6hipcub16HIPCUB_304000_NS18BlockScanAlgorithmE0EEvPKiPi
                                        ; -- End function
	.set _Z20BlockPrefixSumKernelILi256ELi4ELN6hipcub16HIPCUB_304000_NS18BlockScanAlgorithmE0EEvPKiPi.num_vgpr, 19
	.set _Z20BlockPrefixSumKernelILi256ELi4ELN6hipcub16HIPCUB_304000_NS18BlockScanAlgorithmE0EEvPKiPi.num_agpr, 0
	.set _Z20BlockPrefixSumKernelILi256ELi4ELN6hipcub16HIPCUB_304000_NS18BlockScanAlgorithmE0EEvPKiPi.numbered_sgpr, 4
	.set _Z20BlockPrefixSumKernelILi256ELi4ELN6hipcub16HIPCUB_304000_NS18BlockScanAlgorithmE0EEvPKiPi.num_named_barrier, 0
	.set _Z20BlockPrefixSumKernelILi256ELi4ELN6hipcub16HIPCUB_304000_NS18BlockScanAlgorithmE0EEvPKiPi.private_seg_size, 0
	.set _Z20BlockPrefixSumKernelILi256ELi4ELN6hipcub16HIPCUB_304000_NS18BlockScanAlgorithmE0EEvPKiPi.uses_vcc, 1
	.set _Z20BlockPrefixSumKernelILi256ELi4ELN6hipcub16HIPCUB_304000_NS18BlockScanAlgorithmE0EEvPKiPi.uses_flat_scratch, 0
	.set _Z20BlockPrefixSumKernelILi256ELi4ELN6hipcub16HIPCUB_304000_NS18BlockScanAlgorithmE0EEvPKiPi.has_dyn_sized_stack, 0
	.set _Z20BlockPrefixSumKernelILi256ELi4ELN6hipcub16HIPCUB_304000_NS18BlockScanAlgorithmE0EEvPKiPi.has_recursion, 0
	.set _Z20BlockPrefixSumKernelILi256ELi4ELN6hipcub16HIPCUB_304000_NS18BlockScanAlgorithmE0EEvPKiPi.has_indirect_call, 0
	.section	.AMDGPU.csdata,"",@progbits
; Kernel info:
; codeLenInByte = 992
; TotalNumSgprs: 6
; NumVgprs: 19
; ScratchSize: 0
; MemoryBound: 0
; FloatMode: 240
; IeeeMode: 1
; LDSByteSize: 4224 bytes/workgroup (compile time only)
; SGPRBlocks: 0
; VGPRBlocks: 1
; NumSGPRsForWavesPerEU: 6
; NumVGPRsForWavesPerEU: 19
; NamedBarCnt: 0
; Occupancy: 16
; WaveLimiterHint : 1
; COMPUTE_PGM_RSRC2:SCRATCH_EN: 0
; COMPUTE_PGM_RSRC2:USER_SGPR: 2
; COMPUTE_PGM_RSRC2:TRAP_HANDLER: 0
; COMPUTE_PGM_RSRC2:TGID_X_EN: 1
; COMPUTE_PGM_RSRC2:TGID_Y_EN: 0
; COMPUTE_PGM_RSRC2:TGID_Z_EN: 0
; COMPUTE_PGM_RSRC2:TIDIG_COMP_CNT: 0
	.section	.text._Z20BlockPrefixSumKernelILi128ELi8ELN6hipcub16HIPCUB_304000_NS18BlockScanAlgorithmE0EEvPKiPi,"axG",@progbits,_Z20BlockPrefixSumKernelILi128ELi8ELN6hipcub16HIPCUB_304000_NS18BlockScanAlgorithmE0EEvPKiPi,comdat
	.protected	_Z20BlockPrefixSumKernelILi128ELi8ELN6hipcub16HIPCUB_304000_NS18BlockScanAlgorithmE0EEvPKiPi ; -- Begin function _Z20BlockPrefixSumKernelILi128ELi8ELN6hipcub16HIPCUB_304000_NS18BlockScanAlgorithmE0EEvPKiPi
	.globl	_Z20BlockPrefixSumKernelILi128ELi8ELN6hipcub16HIPCUB_304000_NS18BlockScanAlgorithmE0EEvPKiPi
	.p2align	8
	.type	_Z20BlockPrefixSumKernelILi128ELi8ELN6hipcub16HIPCUB_304000_NS18BlockScanAlgorithmE0EEvPKiPi,@function
_Z20BlockPrefixSumKernelILi128ELi8ELN6hipcub16HIPCUB_304000_NS18BlockScanAlgorithmE0EEvPKiPi: ; @_Z20BlockPrefixSumKernelILi128ELi8ELN6hipcub16HIPCUB_304000_NS18BlockScanAlgorithmE0EEvPKiPi
; %bb.0:
	s_load_b128 s[0:3], s[0:1], 0x0
	v_mbcnt_lo_u32_b32 v1, -1, 0
	v_dual_mov_b32 v3, 0 :: v_dual_lshlrev_b32 v4, 3, v0
	v_and_b32_e32 v24, 0x3e0, v0
	s_delay_alu instid0(VALU_DEP_3) | instskip(NEXT) | instid1(VALU_DEP_3)
	v_lshlrev_b32_e32 v2, 2, v1
	v_and_b32_e32 v8, 0x1f00, v4
	s_delay_alu instid0(VALU_DEP_1)
	v_dual_mov_b32 v5, v3 :: v_dual_lshlrev_b32 v4, 2, v8
	v_or_b32_e32 v16, 0x60, v8
	v_or_b32_e32 v17, 0x80, v8
	;; [unrolled: 1-line block ×5, first 2 shown]
	s_delay_alu instid0(VALU_DEP_4) | instskip(SKIP_4) | instid1(VALU_DEP_2)
	v_dual_lshrrev_b32 v16, 3, v16 :: v_dual_lshrrev_b32 v17, 3, v17
	s_wait_kmcnt 0x0
	v_add_nc_u64_e32 v[6:7], s[0:1], v[2:3]
	v_dual_lshrrev_b32 v18, 3, v18 :: v_dual_lshrrev_b32 v19, 3, v19
	s_mov_b32 s0, exec_lo
	v_add_nc_u64_e32 v[6:7], v[6:7], v[4:5]
	s_clause 0x7
	global_load_b32 v3, v[6:7], off
	global_load_b32 v9, v[6:7], off offset:128
	global_load_b32 v10, v[6:7], off offset:256
	;; [unrolled: 1-line block ×7, first 2 shown]
	s_wait_xcnt 0x0
	v_or_b32_e32 v6, v1, v8
	v_or_b32_e32 v5, v1, v24
	s_delay_alu instid0(VALU_DEP_2) | instskip(NEXT) | instid1(VALU_DEP_2)
	v_dual_lshrrev_b32 v7, 3, v8 :: v_dual_lshlrev_b32 v6, 2, v6
	v_dual_lshlrev_b32 v20, 3, v5 :: v_dual_bitop2_b32 v15, 64, v8 bitop3:0x54
	v_or_b32_e32 v8, 0xe0, v8
	v_bfe_u32 v5, v5, 2, 27
	s_delay_alu instid0(VALU_DEP_3) | instskip(SKIP_1) | instid1(VALU_DEP_4)
	v_dual_lshrrev_b32 v14, 3, v14 :: v_dual_lshrrev_b32 v15, 3, v15
	v_dual_add_nc_u32 v16, v16, v6 :: v_dual_add_nc_u32 v17, v17, v6
	v_lshrrev_b32_e32 v8, 3, v8
	s_delay_alu instid0(VALU_DEP_4) | instskip(NEXT) | instid1(VALU_DEP_4)
	v_add_lshl_u32 v21, v5, v20, 2
	v_dual_add_nc_u32 v5, v7, v6 :: v_dual_add_nc_u32 v14, v14, v6
	v_dual_add_nc_u32 v15, v15, v6 :: v_dual_add_nc_u32 v18, v18, v6
	s_delay_alu instid0(VALU_DEP_4)
	v_dual_add_nc_u32 v19, v19, v6 :: v_dual_add_nc_u32 v20, v8, v6
	s_wait_loadcnt 0x7
	ds_store_b32 v5, v3
	s_wait_loadcnt 0x6
	ds_store_b32 v14, v9 offset:128
	s_wait_loadcnt 0x5
	ds_store_b32 v15, v10 offset:256
	;; [unrolled: 2-line block ×7, first 2 shown]
	; wave barrier
	ds_load_2addr_b32 v[12:13], v21 offset1:1
	ds_load_2addr_b32 v[10:11], v21 offset0:2 offset1:3
	ds_load_2addr_b32 v[8:9], v21 offset0:4 offset1:5
	;; [unrolled: 1-line block ×3, first 2 shown]
	v_min_u32_e32 v23, 0x60, v24
	s_wait_dscnt 0x0
	s_barrier_signal -1
	s_barrier_wait -1
	s_delay_alu instid0(VALU_DEP_1) | instskip(NEXT) | instid1(VALU_DEP_1)
	v_dual_add_nc_u32 v3, v13, v12 :: v_dual_bitop2_b32 v23, 31, v23 bitop3:0x54
	v_add3_u32 v3, v3, v10, v11
	s_delay_alu instid0(VALU_DEP_1) | instskip(NEXT) | instid1(VALU_DEP_1)
	v_add3_u32 v3, v3, v8, v9
	v_add3_u32 v3, v3, v6, v7
	s_delay_alu instid0(VALU_DEP_1) | instskip(SKIP_1) | instid1(VALU_DEP_1)
	v_mov_b32_dpp v22, v3 row_shr:1 row_mask:0xf bank_mask:0xf
	v_and_b32_e32 v7, 15, v1
	v_cmp_ne_u32_e32 vcc_lo, 0, v7
	s_delay_alu instid0(VALU_DEP_3) | instskip(SKIP_1) | instid1(VALU_DEP_2)
	v_cndmask_b32_e32 v22, 0, v22, vcc_lo
	v_cmp_lt_u32_e32 vcc_lo, 1, v7
	v_add_nc_u32_e32 v3, v22, v3
	s_delay_alu instid0(VALU_DEP_1) | instskip(NEXT) | instid1(VALU_DEP_1)
	v_mov_b32_dpp v22, v3 row_shr:2 row_mask:0xf bank_mask:0xf
	v_cndmask_b32_e32 v22, 0, v22, vcc_lo
	v_cmp_lt_u32_e32 vcc_lo, 3, v7
	s_delay_alu instid0(VALU_DEP_2) | instskip(NEXT) | instid1(VALU_DEP_1)
	v_add_nc_u32_e32 v3, v3, v22
	v_mov_b32_dpp v22, v3 row_shr:4 row_mask:0xf bank_mask:0xf
	s_delay_alu instid0(VALU_DEP_1) | instskip(SKIP_1) | instid1(VALU_DEP_2)
	v_cndmask_b32_e32 v22, 0, v22, vcc_lo
	v_cmp_lt_u32_e32 vcc_lo, 7, v7
	v_add_nc_u32_e32 v3, v3, v22
	s_delay_alu instid0(VALU_DEP_1) | instskip(NEXT) | instid1(VALU_DEP_1)
	v_mov_b32_dpp v22, v3 row_shr:8 row_mask:0xf bank_mask:0xf
	v_cndmask_b32_e32 v7, 0, v22, vcc_lo
	v_bfe_i32 v22, v1, 4, 1
	s_delay_alu instid0(VALU_DEP_2) | instskip(SKIP_3) | instid1(VALU_DEP_1)
	v_add_nc_u32_e32 v3, v3, v7
	ds_swizzle_b32 v7, v3 offset:swizzle(BROADCAST,32,15)
	s_wait_dscnt 0x0
	v_dual_lshrrev_b32 v22, 5, v0 :: v_dual_bitop2_b32 v7, v22, v7 bitop3:0x40
	v_add_nc_u32_e32 v7, v3, v7
	v_cmpx_eq_u32_e64 v0, v23
; %bb.1:
	s_delay_alu instid0(VALU_DEP_3)
	v_lshlrev_b32_e32 v3, 2, v22
	ds_store_b32 v3, v7
; %bb.2:
	s_or_b32 exec_lo, exec_lo, s0
	s_delay_alu instid0(SALU_CYCLE_1)
	s_mov_b32 s0, exec_lo
	s_wait_dscnt 0x0
	s_barrier_signal -1
	s_barrier_wait -1
	v_cmpx_gt_u32_e32 4, v0
	s_cbranch_execz .LBB8_4
; %bb.3:
	v_dual_lshlrev_b32 v3, 2, v0 :: v_dual_bitop2_b32 v24, 3, v1 bitop3:0x40
	ds_load_b32 v23, v3
	v_cmp_ne_u32_e32 vcc_lo, 0, v24
	s_wait_dscnt 0x0
	v_mov_b32_dpp v25, v23 row_shr:1 row_mask:0xf bank_mask:0xf
	s_delay_alu instid0(VALU_DEP_1) | instskip(SKIP_1) | instid1(VALU_DEP_2)
	v_cndmask_b32_e32 v25, 0, v25, vcc_lo
	v_cmp_lt_u32_e32 vcc_lo, 1, v24
	v_add_nc_u32_e32 v23, v25, v23
	s_delay_alu instid0(VALU_DEP_1) | instskip(NEXT) | instid1(VALU_DEP_1)
	v_mov_b32_dpp v25, v23 row_shr:2 row_mask:0xf bank_mask:0xf
	v_cndmask_b32_e32 v24, 0, v25, vcc_lo
	s_delay_alu instid0(VALU_DEP_1)
	v_add_nc_u32_e32 v23, v23, v24
	ds_store_b32 v3, v23
.LBB8_4:
	s_or_b32 exec_lo, exec_lo, s0
	v_dual_mov_b32 v3, 0 :: v_dual_mov_b32 v23, 0
	s_mov_b32 s0, exec_lo
	s_wait_dscnt 0x0
	s_barrier_signal -1
	s_barrier_wait -1
	v_cmpx_lt_u32_e32 31, v0
; %bb.5:
	v_lshl_add_u32 v22, v22, 2, -4
	ds_load_b32 v23, v22
; %bb.6:
	s_or_b32 exec_lo, exec_lo, s0
	v_sub_co_u32 v22, vcc_lo, v1, 1
	s_wait_dscnt 0x0
	v_add_nc_u32_e32 v7, v23, v7
	s_delay_alu instid0(VALU_DEP_2) | instskip(NEXT) | instid1(VALU_DEP_1)
	v_cmp_gt_i32_e64 s0, 0, v22
	v_cndmask_b32_e64 v1, v22, v1, s0
	s_delay_alu instid0(VALU_DEP_1)
	v_lshlrev_b32_e32 v1, 2, v1
	ds_bpermute_b32 v1, v1, v7
	s_wait_dscnt 0x0
	v_cndmask_b32_e32 v1, v1, v23, vcc_lo
	v_cmp_eq_u32_e32 vcc_lo, 0, v0
	ds_load_b32 v0, v3 offset:12
	s_wait_dscnt 0x0
	s_barrier_signal -1
	s_barrier_wait -1
	v_cndmask_b32_e64 v1, v1, 0, vcc_lo
	s_delay_alu instid0(VALU_DEP_1) | instskip(NEXT) | instid1(VALU_DEP_1)
	v_add_nc_u32_e32 v12, v1, v12
	v_add_nc_u32_e32 v13, v12, v13
	s_delay_alu instid0(VALU_DEP_1) | instskip(NEXT) | instid1(VALU_DEP_1)
	v_add_nc_u32_e32 v10, v13, v10
	v_add_nc_u32_e32 v11, v10, v11
	;; [unrolled: 3-line block ×3, first 2 shown]
	s_delay_alu instid0(VALU_DEP_1)
	v_add_nc_u32_e32 v22, v9, v6
	ds_store_2addr_b32 v21, v1, v12 offset1:1
	ds_store_2addr_b32 v21, v13, v10 offset0:2 offset1:3
	ds_store_2addr_b32 v21, v11, v8 offset0:4 offset1:5
	;; [unrolled: 1-line block ×3, first 2 shown]
	; wave barrier
	ds_load_b32 v1, v5
	ds_load_b32 v8, v14 offset:128
	ds_load_b32 v9, v15 offset:256
	;; [unrolled: 1-line block ×7, first 2 shown]
	v_add_nc_u64_e32 v[6:7], s[2:3], v[2:3]
	v_mov_b32_e32 v5, v3
	s_delay_alu instid0(VALU_DEP_1)
	v_add_nc_u64_e32 v[2:3], v[6:7], v[4:5]
	s_wait_dscnt 0x7
	global_store_b32 v[2:3], v1, off
	s_wait_dscnt 0x6
	global_store_b32 v[2:3], v8, off offset:128
	s_wait_dscnt 0x5
	global_store_b32 v[2:3], v9, off offset:256
	;; [unrolled: 2-line block ×7, first 2 shown]
	s_wait_xcnt 0x0
	s_and_saveexec_b32 s0, vcc_lo
	s_cbranch_execz .LBB8_8
; %bb.7:
	v_mov_b32_e32 v1, 0
	global_store_b32 v1, v0, s[2:3] offset:4096
.LBB8_8:
	s_endpgm
	.section	.rodata,"a",@progbits
	.p2align	6, 0x0
	.amdhsa_kernel _Z20BlockPrefixSumKernelILi128ELi8ELN6hipcub16HIPCUB_304000_NS18BlockScanAlgorithmE0EEvPKiPi
		.amdhsa_group_segment_fixed_size 4224
		.amdhsa_private_segment_fixed_size 0
		.amdhsa_kernarg_size 16
		.amdhsa_user_sgpr_count 2
		.amdhsa_user_sgpr_dispatch_ptr 0
		.amdhsa_user_sgpr_queue_ptr 0
		.amdhsa_user_sgpr_kernarg_segment_ptr 1
		.amdhsa_user_sgpr_dispatch_id 0
		.amdhsa_user_sgpr_kernarg_preload_length 0
		.amdhsa_user_sgpr_kernarg_preload_offset 0
		.amdhsa_user_sgpr_private_segment_size 0
		.amdhsa_wavefront_size32 1
		.amdhsa_uses_dynamic_stack 0
		.amdhsa_enable_private_segment 0
		.amdhsa_system_sgpr_workgroup_id_x 1
		.amdhsa_system_sgpr_workgroup_id_y 0
		.amdhsa_system_sgpr_workgroup_id_z 0
		.amdhsa_system_sgpr_workgroup_info 0
		.amdhsa_system_vgpr_workitem_id 0
		.amdhsa_next_free_vgpr 26
		.amdhsa_next_free_sgpr 4
		.amdhsa_named_barrier_count 0
		.amdhsa_reserve_vcc 1
		.amdhsa_float_round_mode_32 0
		.amdhsa_float_round_mode_16_64 0
		.amdhsa_float_denorm_mode_32 3
		.amdhsa_float_denorm_mode_16_64 3
		.amdhsa_fp16_overflow 0
		.amdhsa_memory_ordered 1
		.amdhsa_forward_progress 1
		.amdhsa_inst_pref_size 11
		.amdhsa_round_robin_scheduling 0
		.amdhsa_exception_fp_ieee_invalid_op 0
		.amdhsa_exception_fp_denorm_src 0
		.amdhsa_exception_fp_ieee_div_zero 0
		.amdhsa_exception_fp_ieee_overflow 0
		.amdhsa_exception_fp_ieee_underflow 0
		.amdhsa_exception_fp_ieee_inexact 0
		.amdhsa_exception_int_div_zero 0
	.end_amdhsa_kernel
	.section	.text._Z20BlockPrefixSumKernelILi128ELi8ELN6hipcub16HIPCUB_304000_NS18BlockScanAlgorithmE0EEvPKiPi,"axG",@progbits,_Z20BlockPrefixSumKernelILi128ELi8ELN6hipcub16HIPCUB_304000_NS18BlockScanAlgorithmE0EEvPKiPi,comdat
.Lfunc_end8:
	.size	_Z20BlockPrefixSumKernelILi128ELi8ELN6hipcub16HIPCUB_304000_NS18BlockScanAlgorithmE0EEvPKiPi, .Lfunc_end8-_Z20BlockPrefixSumKernelILi128ELi8ELN6hipcub16HIPCUB_304000_NS18BlockScanAlgorithmE0EEvPKiPi
                                        ; -- End function
	.set _Z20BlockPrefixSumKernelILi128ELi8ELN6hipcub16HIPCUB_304000_NS18BlockScanAlgorithmE0EEvPKiPi.num_vgpr, 26
	.set _Z20BlockPrefixSumKernelILi128ELi8ELN6hipcub16HIPCUB_304000_NS18BlockScanAlgorithmE0EEvPKiPi.num_agpr, 0
	.set _Z20BlockPrefixSumKernelILi128ELi8ELN6hipcub16HIPCUB_304000_NS18BlockScanAlgorithmE0EEvPKiPi.numbered_sgpr, 4
	.set _Z20BlockPrefixSumKernelILi128ELi8ELN6hipcub16HIPCUB_304000_NS18BlockScanAlgorithmE0EEvPKiPi.num_named_barrier, 0
	.set _Z20BlockPrefixSumKernelILi128ELi8ELN6hipcub16HIPCUB_304000_NS18BlockScanAlgorithmE0EEvPKiPi.private_seg_size, 0
	.set _Z20BlockPrefixSumKernelILi128ELi8ELN6hipcub16HIPCUB_304000_NS18BlockScanAlgorithmE0EEvPKiPi.uses_vcc, 1
	.set _Z20BlockPrefixSumKernelILi128ELi8ELN6hipcub16HIPCUB_304000_NS18BlockScanAlgorithmE0EEvPKiPi.uses_flat_scratch, 0
	.set _Z20BlockPrefixSumKernelILi128ELi8ELN6hipcub16HIPCUB_304000_NS18BlockScanAlgorithmE0EEvPKiPi.has_dyn_sized_stack, 0
	.set _Z20BlockPrefixSumKernelILi128ELi8ELN6hipcub16HIPCUB_304000_NS18BlockScanAlgorithmE0EEvPKiPi.has_recursion, 0
	.set _Z20BlockPrefixSumKernelILi128ELi8ELN6hipcub16HIPCUB_304000_NS18BlockScanAlgorithmE0EEvPKiPi.has_indirect_call, 0
	.section	.AMDGPU.csdata,"",@progbits
; Kernel info:
; codeLenInByte = 1324
; TotalNumSgprs: 6
; NumVgprs: 26
; ScratchSize: 0
; MemoryBound: 0
; FloatMode: 240
; IeeeMode: 1
; LDSByteSize: 4224 bytes/workgroup (compile time only)
; SGPRBlocks: 0
; VGPRBlocks: 1
; NumSGPRsForWavesPerEU: 6
; NumVGPRsForWavesPerEU: 26
; NamedBarCnt: 0
; Occupancy: 16
; WaveLimiterHint : 1
; COMPUTE_PGM_RSRC2:SCRATCH_EN: 0
; COMPUTE_PGM_RSRC2:USER_SGPR: 2
; COMPUTE_PGM_RSRC2:TRAP_HANDLER: 0
; COMPUTE_PGM_RSRC2:TGID_X_EN: 1
; COMPUTE_PGM_RSRC2:TGID_Y_EN: 0
; COMPUTE_PGM_RSRC2:TGID_Z_EN: 0
; COMPUTE_PGM_RSRC2:TIDIG_COMP_CNT: 0
	.section	.text._Z20BlockPrefixSumKernelILi64ELi16ELN6hipcub16HIPCUB_304000_NS18BlockScanAlgorithmE0EEvPKiPi,"axG",@progbits,_Z20BlockPrefixSumKernelILi64ELi16ELN6hipcub16HIPCUB_304000_NS18BlockScanAlgorithmE0EEvPKiPi,comdat
	.protected	_Z20BlockPrefixSumKernelILi64ELi16ELN6hipcub16HIPCUB_304000_NS18BlockScanAlgorithmE0EEvPKiPi ; -- Begin function _Z20BlockPrefixSumKernelILi64ELi16ELN6hipcub16HIPCUB_304000_NS18BlockScanAlgorithmE0EEvPKiPi
	.globl	_Z20BlockPrefixSumKernelILi64ELi16ELN6hipcub16HIPCUB_304000_NS18BlockScanAlgorithmE0EEvPKiPi
	.p2align	8
	.type	_Z20BlockPrefixSumKernelILi64ELi16ELN6hipcub16HIPCUB_304000_NS18BlockScanAlgorithmE0EEvPKiPi,@function
_Z20BlockPrefixSumKernelILi64ELi16ELN6hipcub16HIPCUB_304000_NS18BlockScanAlgorithmE0EEvPKiPi: ; @_Z20BlockPrefixSumKernelILi64ELi16ELN6hipcub16HIPCUB_304000_NS18BlockScanAlgorithmE0EEvPKiPi
; %bb.0:
	s_load_b128 s[0:3], s[0:1], 0x0
	v_mbcnt_lo_u32_b32 v1, -1, 0
	v_dual_mov_b32 v3, 0 :: v_dual_lshlrev_b32 v4, 4, v0
	v_and_b32_e32 v39, 0x3e0, v0
	s_delay_alu instid0(VALU_DEP_3) | instskip(NEXT) | instid1(VALU_DEP_3)
	v_lshlrev_b32_e32 v2, 2, v1
	v_and_b32_e32 v8, 0x3e00, v4
	s_delay_alu instid0(VALU_DEP_1)
	v_dual_mov_b32 v5, v3 :: v_dual_lshlrev_b32 v4, 2, v8
	v_dual_lshrrev_b32 v23, 3, v8 :: v_dual_bitop2_b32 v22, v1, v8 bitop3:0x54
	v_or_b32_e32 v25, 64, v8
	v_or_b32_e32 v26, 0x60, v8
	;; [unrolled: 1-line block ×5, first 2 shown]
	s_wait_kmcnt 0x0
	v_add_nc_u64_e32 v[6:7], s[0:1], v[2:3]
	v_or_b32_e32 v30, 0xe0, v8
	v_or_b32_e32 v31, 0x100, v8
	;; [unrolled: 1-line block ×6, first 2 shown]
	v_add_nc_u64_e32 v[6:7], v[6:7], v[4:5]
	v_or_b32_e32 v36, 0x1a0, v8
	v_or_b32_e32 v37, 0x1c0, v8
	v_lshlrev_b32_e32 v40, 2, v22
	v_dual_lshrrev_b32 v26, 3, v26 :: v_dual_lshrrev_b32 v27, 3, v27
	v_dual_lshrrev_b32 v28, 3, v28 :: v_dual_lshrrev_b32 v29, 3, v29
	s_clause 0xf
	global_load_b32 v3, v[6:7], off
	global_load_b32 v5, v[6:7], off offset:128
	global_load_b32 v9, v[6:7], off offset:256
	;; [unrolled: 1-line block ×15, first 2 shown]
	s_wait_xcnt 0x0
	v_or_b32_e32 v7, v1, v39
	v_or_b32_e32 v24, 32, v8
	;; [unrolled: 1-line block ×3, first 2 shown]
	v_dual_lshrrev_b32 v25, 3, v25 :: v_dual_lshrrev_b32 v30, 3, v30
	v_lshrrev_b32_e32 v31, 3, v31
	v_lshlrev_b32_e32 v38, 4, v7
	v_bfe_u32 v7, v7, 1, 27
	v_lshrrev_b32_e32 v24, 3, v24
	v_dual_lshrrev_b32 v32, 3, v32 :: v_dual_lshrrev_b32 v33, 3, v33
	v_dual_lshrrev_b32 v34, 3, v34 :: v_dual_lshrrev_b32 v35, 3, v35
	;; [unrolled: 1-line block ×3, first 2 shown]
	v_lshrrev_b32_e32 v8, 3, v8
	v_add_lshl_u32 v38, v7, v38, 2
	v_dual_add_nc_u32 v22, v23, v40 :: v_dual_add_nc_u32 v23, v24, v40
	v_dual_add_nc_u32 v24, v25, v40 :: v_dual_add_nc_u32 v25, v26, v40
	v_dual_add_nc_u32 v26, v27, v40 :: v_dual_add_nc_u32 v27, v28, v40
	v_dual_add_nc_u32 v28, v29, v40 :: v_dual_add_nc_u32 v29, v30, v40
	v_dual_add_nc_u32 v30, v31, v40 :: v_dual_add_nc_u32 v31, v32, v40
	v_dual_add_nc_u32 v32, v33, v40 :: v_dual_add_nc_u32 v33, v34, v40
	v_dual_add_nc_u32 v34, v35, v40 :: v_dual_add_nc_u32 v35, v36, v40
	v_dual_add_nc_u32 v36, v37, v40 :: v_dual_add_nc_u32 v37, v8, v40
	v_min_u32_e32 v39, 32, v39
	s_mov_b32 s0, exec_lo
	s_wait_loadcnt 0xf
	ds_store_b32 v22, v3
	s_wait_loadcnt 0xe
	ds_store_b32 v23, v5 offset:128
	s_wait_loadcnt 0xd
	ds_store_b32 v24, v9 offset:256
	s_wait_loadcnt 0xc
	ds_store_b32 v25, v10 offset:384
	s_wait_loadcnt 0xb
	ds_store_b32 v26, v11 offset:512
	s_wait_loadcnt 0xa
	ds_store_b32 v27, v12 offset:640
	s_wait_loadcnt 0x9
	ds_store_b32 v28, v13 offset:768
	s_wait_loadcnt 0x8
	ds_store_b32 v29, v14 offset:896
	s_wait_loadcnt 0x7
	ds_store_b32 v30, v15 offset:1024
	s_wait_loadcnt 0x6
	ds_store_b32 v31, v16 offset:1152
	s_wait_loadcnt 0x5
	ds_store_b32 v32, v17 offset:1280
	s_wait_loadcnt 0x4
	ds_store_b32 v33, v18 offset:1408
	s_wait_loadcnt 0x3
	ds_store_b32 v34, v19 offset:1536
	s_wait_loadcnt 0x2
	ds_store_b32 v35, v20 offset:1664
	s_wait_loadcnt 0x1
	ds_store_b32 v36, v21 offset:1792
	s_wait_loadcnt 0x0
	ds_store_b32 v37, v6 offset:1920
	; wave barrier
	ds_load_2addr_b32 v[16:17], v38 offset1:1
	ds_load_2addr_b32 v[14:15], v38 offset0:2 offset1:3
	ds_load_2addr_b32 v[12:13], v38 offset0:4 offset1:5
	;; [unrolled: 1-line block ×3, first 2 shown]
	v_and_b32_e32 v5, 15, v1
	ds_load_2addr_b32 v[18:19], v38 offset0:8 offset1:9
	ds_load_2addr_b32 v[20:21], v38 offset0:10 offset1:11
	ds_load_2addr_b32 v[8:9], v38 offset0:12 offset1:13
	ds_load_2addr_b32 v[6:7], v38 offset0:14 offset1:15
	v_or_b32_e32 v39, 31, v39
	v_cmp_ne_u32_e32 vcc_lo, 0, v5
	s_wait_dscnt 0x0
	s_barrier_signal -1
	s_barrier_wait -1
	v_add_nc_u32_e32 v3, v17, v16
	s_delay_alu instid0(VALU_DEP_1) | instskip(NEXT) | instid1(VALU_DEP_1)
	v_add3_u32 v3, v3, v14, v15
	v_add3_u32 v3, v3, v12, v13
	s_delay_alu instid0(VALU_DEP_1) | instskip(NEXT) | instid1(VALU_DEP_1)
	v_add3_u32 v3, v3, v10, v11
	v_add3_u32 v3, v3, v18, v19
	;; [unrolled: 3-line block ×3, first 2 shown]
	s_delay_alu instid0(VALU_DEP_1) | instskip(NEXT) | instid1(VALU_DEP_1)
	v_add3_u32 v3, v3, v6, v7
	v_mov_b32_dpp v7, v3 row_shr:1 row_mask:0xf bank_mask:0xf
	s_delay_alu instid0(VALU_DEP_1) | instskip(SKIP_1) | instid1(VALU_DEP_2)
	v_cndmask_b32_e32 v7, 0, v7, vcc_lo
	v_cmp_lt_u32_e32 vcc_lo, 1, v5
	v_add_nc_u32_e32 v3, v7, v3
	s_delay_alu instid0(VALU_DEP_1) | instskip(NEXT) | instid1(VALU_DEP_1)
	v_mov_b32_dpp v7, v3 row_shr:2 row_mask:0xf bank_mask:0xf
	v_cndmask_b32_e32 v7, 0, v7, vcc_lo
	v_cmp_lt_u32_e32 vcc_lo, 3, v5
	s_delay_alu instid0(VALU_DEP_2) | instskip(NEXT) | instid1(VALU_DEP_1)
	v_add_nc_u32_e32 v3, v3, v7
	v_mov_b32_dpp v7, v3 row_shr:4 row_mask:0xf bank_mask:0xf
	s_delay_alu instid0(VALU_DEP_1) | instskip(SKIP_1) | instid1(VALU_DEP_2)
	v_cndmask_b32_e32 v7, 0, v7, vcc_lo
	v_cmp_lt_u32_e32 vcc_lo, 7, v5
	v_add_nc_u32_e32 v3, v3, v7
	s_delay_alu instid0(VALU_DEP_1) | instskip(NEXT) | instid1(VALU_DEP_1)
	v_mov_b32_dpp v7, v3 row_shr:8 row_mask:0xf bank_mask:0xf
	v_cndmask_b32_e32 v5, 0, v7, vcc_lo
	v_bfe_i32 v7, v1, 4, 1
	s_delay_alu instid0(VALU_DEP_2) | instskip(SKIP_3) | instid1(VALU_DEP_1)
	v_add_nc_u32_e32 v3, v3, v5
	ds_swizzle_b32 v5, v3 offset:swizzle(BROADCAST,32,15)
	s_wait_dscnt 0x0
	v_dual_lshrrev_b32 v7, 5, v0 :: v_dual_bitop2_b32 v5, v7, v5 bitop3:0x40
	v_add_nc_u32_e32 v5, v3, v5
	v_cmpx_eq_u32_e64 v0, v39
; %bb.1:
	s_delay_alu instid0(VALU_DEP_3)
	v_lshlrev_b32_e32 v3, 2, v7
	ds_store_b32 v3, v5
; %bb.2:
	s_or_b32 exec_lo, exec_lo, s0
	s_delay_alu instid0(SALU_CYCLE_1)
	s_mov_b32 s0, exec_lo
	s_wait_dscnt 0x0
	s_barrier_signal -1
	s_barrier_wait -1
	v_cmpx_gt_u32_e32 2, v0
	s_cbranch_execz .LBB9_4
; %bb.3:
	v_bfe_i32 v40, v1, 0, 1
	v_lshlrev_b32_e32 v3, 2, v0
	ds_load_b32 v39, v3
	s_wait_dscnt 0x0
	v_mov_b32_dpp v41, v39 row_shr:1 row_mask:0xf bank_mask:0xf
	s_delay_alu instid0(VALU_DEP_1) | instskip(NEXT) | instid1(VALU_DEP_1)
	v_and_b32_e32 v40, v40, v41
	v_add_nc_u32_e32 v39, v40, v39
	ds_store_b32 v3, v39
.LBB9_4:
	s_or_b32 exec_lo, exec_lo, s0
	v_dual_mov_b32 v3, 0 :: v_dual_mov_b32 v39, 0
	s_mov_b32 s0, exec_lo
	s_wait_dscnt 0x0
	s_barrier_signal -1
	s_barrier_wait -1
	v_cmpx_lt_u32_e32 31, v0
; %bb.5:
	v_lshl_add_u32 v7, v7, 2, -4
	ds_load_b32 v39, v7
; %bb.6:
	s_or_b32 exec_lo, exec_lo, s0
	v_sub_co_u32 v7, vcc_lo, v1, 1
	s_wait_dscnt 0x0
	v_add_nc_u32_e32 v5, v39, v5
	s_delay_alu instid0(VALU_DEP_2) | instskip(NEXT) | instid1(VALU_DEP_1)
	v_cmp_gt_i32_e64 s0, 0, v7
	v_cndmask_b32_e64 v1, v7, v1, s0
	s_delay_alu instid0(VALU_DEP_1)
	v_lshlrev_b32_e32 v1, 2, v1
	ds_bpermute_b32 v1, v1, v5
	s_wait_dscnt 0x0
	v_cndmask_b32_e32 v1, v1, v39, vcc_lo
	v_cmp_eq_u32_e32 vcc_lo, 0, v0
	ds_load_b32 v0, v3 offset:4
	s_wait_dscnt 0x0
	s_barrier_signal -1
	s_barrier_wait -1
	v_cndmask_b32_e64 v1, v1, 0, vcc_lo
	s_delay_alu instid0(VALU_DEP_1) | instskip(NEXT) | instid1(VALU_DEP_1)
	v_add_nc_u32_e32 v7, v1, v16
	v_add_nc_u32_e32 v16, v7, v17
	s_delay_alu instid0(VALU_DEP_1) | instskip(NEXT) | instid1(VALU_DEP_1)
	v_add_nc_u32_e32 v14, v16, v14
	v_add_nc_u32_e32 v15, v14, v15
	;; [unrolled: 3-line block ×4, first 2 shown]
	v_add_nc_u64_e32 v[10:11], s[2:3], v[2:3]
	s_delay_alu instid0(VALU_DEP_2) | instskip(NEXT) | instid1(VALU_DEP_1)
	v_add_nc_u32_e32 v18, v39, v18
	v_add_nc_u32_e32 v19, v18, v19
	s_delay_alu instid0(VALU_DEP_1) | instskip(NEXT) | instid1(VALU_DEP_1)
	v_add_nc_u32_e32 v20, v19, v20
	v_add_nc_u32_e32 v21, v20, v21
	s_delay_alu instid0(VALU_DEP_1) | instskip(NEXT) | instid1(VALU_DEP_1)
	v_add_nc_u32_e32 v8, v21, v8
	v_dual_add_nc_u32 v9, v8, v9 :: v_dual_mov_b32 v5, v3
	s_delay_alu instid0(VALU_DEP_1) | instskip(NEXT) | instid1(VALU_DEP_2)
	v_add_nc_u64_e32 v[2:3], v[10:11], v[4:5]
	v_add_nc_u32_e32 v4, v9, v6
	ds_store_2addr_b32 v38, v1, v7 offset1:1
	ds_store_2addr_b32 v38, v16, v14 offset0:2 offset1:3
	ds_store_2addr_b32 v38, v15, v12 offset0:4 offset1:5
	;; [unrolled: 1-line block ×7, first 2 shown]
	; wave barrier
	ds_load_b32 v1, v22
	ds_load_b32 v4, v23 offset:128
	ds_load_b32 v5, v24 offset:256
	;; [unrolled: 1-line block ×15, first 2 shown]
	s_wait_dscnt 0xf
	global_store_b32 v[2:3], v1, off
	s_wait_dscnt 0xe
	global_store_b32 v[2:3], v4, off offset:128
	s_wait_dscnt 0xd
	global_store_b32 v[2:3], v5, off offset:256
	s_wait_dscnt 0xc
	global_store_b32 v[2:3], v6, off offset:384
	s_wait_dscnt 0xb
	global_store_b32 v[2:3], v7, off offset:512
	s_wait_dscnt 0xa
	global_store_b32 v[2:3], v8, off offset:640
	s_wait_dscnt 0x9
	global_store_b32 v[2:3], v9, off offset:768
	s_wait_dscnt 0x8
	global_store_b32 v[2:3], v10, off offset:896
	s_wait_dscnt 0x7
	global_store_b32 v[2:3], v11, off offset:1024
	s_wait_dscnt 0x6
	global_store_b32 v[2:3], v12, off offset:1152
	s_wait_dscnt 0x5
	global_store_b32 v[2:3], v13, off offset:1280
	s_wait_dscnt 0x4
	global_store_b32 v[2:3], v14, off offset:1408
	s_wait_dscnt 0x3
	global_store_b32 v[2:3], v15, off offset:1536
	s_wait_dscnt 0x2
	global_store_b32 v[2:3], v16, off offset:1664
	s_wait_dscnt 0x1
	global_store_b32 v[2:3], v17, off offset:1792
	s_wait_dscnt 0x0
	global_store_b32 v[2:3], v18, off offset:1920
	s_wait_xcnt 0x0
	s_and_saveexec_b32 s0, vcc_lo
	s_cbranch_execz .LBB9_8
; %bb.7:
	v_mov_b32_e32 v1, 0
	global_store_b32 v1, v0, s[2:3] offset:4096
.LBB9_8:
	s_endpgm
	.section	.rodata,"a",@progbits
	.p2align	6, 0x0
	.amdhsa_kernel _Z20BlockPrefixSumKernelILi64ELi16ELN6hipcub16HIPCUB_304000_NS18BlockScanAlgorithmE0EEvPKiPi
		.amdhsa_group_segment_fixed_size 4224
		.amdhsa_private_segment_fixed_size 0
		.amdhsa_kernarg_size 16
		.amdhsa_user_sgpr_count 2
		.amdhsa_user_sgpr_dispatch_ptr 0
		.amdhsa_user_sgpr_queue_ptr 0
		.amdhsa_user_sgpr_kernarg_segment_ptr 1
		.amdhsa_user_sgpr_dispatch_id 0
		.amdhsa_user_sgpr_kernarg_preload_length 0
		.amdhsa_user_sgpr_kernarg_preload_offset 0
		.amdhsa_user_sgpr_private_segment_size 0
		.amdhsa_wavefront_size32 1
		.amdhsa_uses_dynamic_stack 0
		.amdhsa_enable_private_segment 0
		.amdhsa_system_sgpr_workgroup_id_x 1
		.amdhsa_system_sgpr_workgroup_id_y 0
		.amdhsa_system_sgpr_workgroup_id_z 0
		.amdhsa_system_sgpr_workgroup_info 0
		.amdhsa_system_vgpr_workitem_id 0
		.amdhsa_next_free_vgpr 42
		.amdhsa_next_free_sgpr 4
		.amdhsa_named_barrier_count 0
		.amdhsa_reserve_vcc 1
		.amdhsa_float_round_mode_32 0
		.amdhsa_float_round_mode_16_64 0
		.amdhsa_float_denorm_mode_32 3
		.amdhsa_float_denorm_mode_16_64 3
		.amdhsa_fp16_overflow 0
		.amdhsa_memory_ordered 1
		.amdhsa_forward_progress 1
		.amdhsa_inst_pref_size 16
		.amdhsa_round_robin_scheduling 0
		.amdhsa_exception_fp_ieee_invalid_op 0
		.amdhsa_exception_fp_denorm_src 0
		.amdhsa_exception_fp_ieee_div_zero 0
		.amdhsa_exception_fp_ieee_overflow 0
		.amdhsa_exception_fp_ieee_underflow 0
		.amdhsa_exception_fp_ieee_inexact 0
		.amdhsa_exception_int_div_zero 0
	.end_amdhsa_kernel
	.section	.text._Z20BlockPrefixSumKernelILi64ELi16ELN6hipcub16HIPCUB_304000_NS18BlockScanAlgorithmE0EEvPKiPi,"axG",@progbits,_Z20BlockPrefixSumKernelILi64ELi16ELN6hipcub16HIPCUB_304000_NS18BlockScanAlgorithmE0EEvPKiPi,comdat
.Lfunc_end9:
	.size	_Z20BlockPrefixSumKernelILi64ELi16ELN6hipcub16HIPCUB_304000_NS18BlockScanAlgorithmE0EEvPKiPi, .Lfunc_end9-_Z20BlockPrefixSumKernelILi64ELi16ELN6hipcub16HIPCUB_304000_NS18BlockScanAlgorithmE0EEvPKiPi
                                        ; -- End function
	.set _Z20BlockPrefixSumKernelILi64ELi16ELN6hipcub16HIPCUB_304000_NS18BlockScanAlgorithmE0EEvPKiPi.num_vgpr, 42
	.set _Z20BlockPrefixSumKernelILi64ELi16ELN6hipcub16HIPCUB_304000_NS18BlockScanAlgorithmE0EEvPKiPi.num_agpr, 0
	.set _Z20BlockPrefixSumKernelILi64ELi16ELN6hipcub16HIPCUB_304000_NS18BlockScanAlgorithmE0EEvPKiPi.numbered_sgpr, 4
	.set _Z20BlockPrefixSumKernelILi64ELi16ELN6hipcub16HIPCUB_304000_NS18BlockScanAlgorithmE0EEvPKiPi.num_named_barrier, 0
	.set _Z20BlockPrefixSumKernelILi64ELi16ELN6hipcub16HIPCUB_304000_NS18BlockScanAlgorithmE0EEvPKiPi.private_seg_size, 0
	.set _Z20BlockPrefixSumKernelILi64ELi16ELN6hipcub16HIPCUB_304000_NS18BlockScanAlgorithmE0EEvPKiPi.uses_vcc, 1
	.set _Z20BlockPrefixSumKernelILi64ELi16ELN6hipcub16HIPCUB_304000_NS18BlockScanAlgorithmE0EEvPKiPi.uses_flat_scratch, 0
	.set _Z20BlockPrefixSumKernelILi64ELi16ELN6hipcub16HIPCUB_304000_NS18BlockScanAlgorithmE0EEvPKiPi.has_dyn_sized_stack, 0
	.set _Z20BlockPrefixSumKernelILi64ELi16ELN6hipcub16HIPCUB_304000_NS18BlockScanAlgorithmE0EEvPKiPi.has_recursion, 0
	.set _Z20BlockPrefixSumKernelILi64ELi16ELN6hipcub16HIPCUB_304000_NS18BlockScanAlgorithmE0EEvPKiPi.has_indirect_call, 0
	.section	.AMDGPU.csdata,"",@progbits
; Kernel info:
; codeLenInByte = 1948
; TotalNumSgprs: 6
; NumVgprs: 42
; ScratchSize: 0
; MemoryBound: 0
; FloatMode: 240
; IeeeMode: 1
; LDSByteSize: 4224 bytes/workgroup (compile time only)
; SGPRBlocks: 0
; VGPRBlocks: 2
; NumSGPRsForWavesPerEU: 6
; NumVGPRsForWavesPerEU: 42
; NamedBarCnt: 0
; Occupancy: 16
; WaveLimiterHint : 1
; COMPUTE_PGM_RSRC2:SCRATCH_EN: 0
; COMPUTE_PGM_RSRC2:USER_SGPR: 2
; COMPUTE_PGM_RSRC2:TRAP_HANDLER: 0
; COMPUTE_PGM_RSRC2:TGID_X_EN: 1
; COMPUTE_PGM_RSRC2:TGID_Y_EN: 0
; COMPUTE_PGM_RSRC2:TGID_Z_EN: 0
; COMPUTE_PGM_RSRC2:TIDIG_COMP_CNT: 0
	.section	.AMDGPU.gpr_maximums,"",@progbits
	.set amdgpu.max_num_vgpr, 0
	.set amdgpu.max_num_agpr, 0
	.set amdgpu.max_num_sgpr, 0
	.section	.AMDGPU.csdata,"",@progbits
	.type	__hip_cuid_dfee8d7f19c6a098,@object ; @__hip_cuid_dfee8d7f19c6a098
	.section	.bss,"aw",@nobits
	.globl	__hip_cuid_dfee8d7f19c6a098
__hip_cuid_dfee8d7f19c6a098:
	.byte	0                               ; 0x0
	.size	__hip_cuid_dfee8d7f19c6a098, 1

	.ident	"AMD clang version 22.0.0git (https://github.com/RadeonOpenCompute/llvm-project roc-7.2.4 26084 f58b06dce1f9c15707c5f808fd002e18c2accf7e)"
	.section	".note.GNU-stack","",@progbits
	.addrsig
	.addrsig_sym __hip_cuid_dfee8d7f19c6a098
	.amdgpu_metadata
---
amdhsa.kernels:
  - .args:
      - .address_space:  global
        .offset:         0
        .size:           8
        .value_kind:     global_buffer
      - .address_space:  global
        .offset:         8
        .size:           8
        .value_kind:     global_buffer
    .group_segment_fixed_size: 4224
    .kernarg_segment_align: 8
    .kernarg_segment_size: 16
    .language:       OpenCL C
    .language_version:
      - 2
      - 0
    .max_flat_workgroup_size: 1024
    .name:           _Z20BlockPrefixSumKernelILi1024ELi1ELN6hipcub16HIPCUB_304000_NS18BlockScanAlgorithmE1EEvPKiPi
    .private_segment_fixed_size: 0
    .sgpr_count:     6
    .sgpr_spill_count: 0
    .symbol:         _Z20BlockPrefixSumKernelILi1024ELi1ELN6hipcub16HIPCUB_304000_NS18BlockScanAlgorithmE1EEvPKiPi.kd
    .uniform_work_group_size: 1
    .uses_dynamic_stack: false
    .vgpr_count:     37
    .vgpr_spill_count: 0
    .wavefront_size: 32
  - .args:
      - .address_space:  global
        .offset:         0
        .size:           8
        .value_kind:     global_buffer
      - .address_space:  global
        .offset:         8
        .size:           8
        .value_kind:     global_buffer
    .group_segment_fixed_size: 4224
    .kernarg_segment_align: 8
    .kernarg_segment_size: 16
    .language:       OpenCL C
    .language_version:
      - 2
      - 0
    .max_flat_workgroup_size: 1024
    .name:           _Z20BlockPrefixSumKernelILi512ELi2ELN6hipcub16HIPCUB_304000_NS18BlockScanAlgorithmE1EEvPKiPi
    .private_segment_fixed_size: 0
    .sgpr_count:     6
    .sgpr_spill_count: 0
    .symbol:         _Z20BlockPrefixSumKernelILi512ELi2ELN6hipcub16HIPCUB_304000_NS18BlockScanAlgorithmE1EEvPKiPi.kd
    .uniform_work_group_size: 1
    .uses_dynamic_stack: false
    .vgpr_count:     24
    .vgpr_spill_count: 0
    .wavefront_size: 32
  - .args:
      - .address_space:  global
        .offset:         0
        .size:           8
        .value_kind:     global_buffer
      - .address_space:  global
        .offset:         8
        .size:           8
        .value_kind:     global_buffer
    .group_segment_fixed_size: 4224
    .kernarg_segment_align: 8
    .kernarg_segment_size: 16
    .language:       OpenCL C
    .language_version:
      - 2
      - 0
    .max_flat_workgroup_size: 1024
    .name:           _Z20BlockPrefixSumKernelILi256ELi4ELN6hipcub16HIPCUB_304000_NS18BlockScanAlgorithmE1EEvPKiPi
    .private_segment_fixed_size: 0
    .sgpr_count:     6
    .sgpr_spill_count: 0
    .symbol:         _Z20BlockPrefixSumKernelILi256ELi4ELN6hipcub16HIPCUB_304000_NS18BlockScanAlgorithmE1EEvPKiPi.kd
    .uniform_work_group_size: 1
    .uses_dynamic_stack: false
    .vgpr_count:     24
    .vgpr_spill_count: 0
    .wavefront_size: 32
  - .args:
      - .address_space:  global
        .offset:         0
        .size:           8
        .value_kind:     global_buffer
      - .address_space:  global
        .offset:         8
        .size:           8
        .value_kind:     global_buffer
    .group_segment_fixed_size: 4224
    .kernarg_segment_align: 8
    .kernarg_segment_size: 16
    .language:       OpenCL C
    .language_version:
      - 2
      - 0
    .max_flat_workgroup_size: 1024
    .name:           _Z20BlockPrefixSumKernelILi128ELi8ELN6hipcub16HIPCUB_304000_NS18BlockScanAlgorithmE1EEvPKiPi
    .private_segment_fixed_size: 0
    .sgpr_count:     6
    .sgpr_spill_count: 0
    .symbol:         _Z20BlockPrefixSumKernelILi128ELi8ELN6hipcub16HIPCUB_304000_NS18BlockScanAlgorithmE1EEvPKiPi.kd
    .uniform_work_group_size: 1
    .uses_dynamic_stack: false
    .vgpr_count:     28
    .vgpr_spill_count: 0
    .wavefront_size: 32
  - .args:
      - .address_space:  global
        .offset:         0
        .size:           8
        .value_kind:     global_buffer
      - .address_space:  global
        .offset:         8
        .size:           8
        .value_kind:     global_buffer
    .group_segment_fixed_size: 4224
    .kernarg_segment_align: 8
    .kernarg_segment_size: 16
    .language:       OpenCL C
    .language_version:
      - 2
      - 0
    .max_flat_workgroup_size: 1024
    .name:           _Z20BlockPrefixSumKernelILi64ELi16ELN6hipcub16HIPCUB_304000_NS18BlockScanAlgorithmE1EEvPKiPi
    .private_segment_fixed_size: 0
    .sgpr_count:     6
    .sgpr_spill_count: 0
    .symbol:         _Z20BlockPrefixSumKernelILi64ELi16ELN6hipcub16HIPCUB_304000_NS18BlockScanAlgorithmE1EEvPKiPi.kd
    .uniform_work_group_size: 1
    .uses_dynamic_stack: false
    .vgpr_count:     44
    .vgpr_spill_count: 0
    .wavefront_size: 32
  - .args:
      - .address_space:  global
        .offset:         0
        .size:           8
        .value_kind:     global_buffer
      - .address_space:  global
        .offset:         8
        .size:           8
        .value_kind:     global_buffer
    .group_segment_fixed_size: 4096
    .kernarg_segment_align: 8
    .kernarg_segment_size: 16
    .language:       OpenCL C
    .language_version:
      - 2
      - 0
    .max_flat_workgroup_size: 1024
    .name:           _Z20BlockPrefixSumKernelILi1024ELi1ELN6hipcub16HIPCUB_304000_NS18BlockScanAlgorithmE0EEvPKiPi
    .private_segment_fixed_size: 0
    .sgpr_count:     11
    .sgpr_spill_count: 0
    .symbol:         _Z20BlockPrefixSumKernelILi1024ELi1ELN6hipcub16HIPCUB_304000_NS18BlockScanAlgorithmE0EEvPKiPi.kd
    .uniform_work_group_size: 1
    .uses_dynamic_stack: false
    .vgpr_count:     10
    .vgpr_spill_count: 0
    .wavefront_size: 32
  - .args:
      - .address_space:  global
        .offset:         0
        .size:           8
        .value_kind:     global_buffer
      - .address_space:  global
        .offset:         8
        .size:           8
        .value_kind:     global_buffer
    .group_segment_fixed_size: 4224
    .kernarg_segment_align: 8
    .kernarg_segment_size: 16
    .language:       OpenCL C
    .language_version:
      - 2
      - 0
    .max_flat_workgroup_size: 1024
    .name:           _Z20BlockPrefixSumKernelILi512ELi2ELN6hipcub16HIPCUB_304000_NS18BlockScanAlgorithmE0EEvPKiPi
    .private_segment_fixed_size: 0
    .sgpr_count:     10
    .sgpr_spill_count: 0
    .symbol:         _Z20BlockPrefixSumKernelILi512ELi2ELN6hipcub16HIPCUB_304000_NS18BlockScanAlgorithmE0EEvPKiPi.kd
    .uniform_work_group_size: 1
    .uses_dynamic_stack: false
    .vgpr_count:     13
    .vgpr_spill_count: 0
    .wavefront_size: 32
  - .args:
      - .address_space:  global
        .offset:         0
        .size:           8
        .value_kind:     global_buffer
      - .address_space:  global
        .offset:         8
        .size:           8
        .value_kind:     global_buffer
    .group_segment_fixed_size: 4224
    .kernarg_segment_align: 8
    .kernarg_segment_size: 16
    .language:       OpenCL C
    .language_version:
      - 2
      - 0
    .max_flat_workgroup_size: 1024
    .name:           _Z20BlockPrefixSumKernelILi256ELi4ELN6hipcub16HIPCUB_304000_NS18BlockScanAlgorithmE0EEvPKiPi
    .private_segment_fixed_size: 0
    .sgpr_count:     6
    .sgpr_spill_count: 0
    .symbol:         _Z20BlockPrefixSumKernelILi256ELi4ELN6hipcub16HIPCUB_304000_NS18BlockScanAlgorithmE0EEvPKiPi.kd
    .uniform_work_group_size: 1
    .uses_dynamic_stack: false
    .vgpr_count:     19
    .vgpr_spill_count: 0
    .wavefront_size: 32
  - .args:
      - .address_space:  global
        .offset:         0
        .size:           8
        .value_kind:     global_buffer
      - .address_space:  global
        .offset:         8
        .size:           8
        .value_kind:     global_buffer
    .group_segment_fixed_size: 4224
    .kernarg_segment_align: 8
    .kernarg_segment_size: 16
    .language:       OpenCL C
    .language_version:
      - 2
      - 0
    .max_flat_workgroup_size: 1024
    .name:           _Z20BlockPrefixSumKernelILi128ELi8ELN6hipcub16HIPCUB_304000_NS18BlockScanAlgorithmE0EEvPKiPi
    .private_segment_fixed_size: 0
    .sgpr_count:     6
    .sgpr_spill_count: 0
    .symbol:         _Z20BlockPrefixSumKernelILi128ELi8ELN6hipcub16HIPCUB_304000_NS18BlockScanAlgorithmE0EEvPKiPi.kd
    .uniform_work_group_size: 1
    .uses_dynamic_stack: false
    .vgpr_count:     26
    .vgpr_spill_count: 0
    .wavefront_size: 32
  - .args:
      - .address_space:  global
        .offset:         0
        .size:           8
        .value_kind:     global_buffer
      - .address_space:  global
        .offset:         8
        .size:           8
        .value_kind:     global_buffer
    .group_segment_fixed_size: 4224
    .kernarg_segment_align: 8
    .kernarg_segment_size: 16
    .language:       OpenCL C
    .language_version:
      - 2
      - 0
    .max_flat_workgroup_size: 1024
    .name:           _Z20BlockPrefixSumKernelILi64ELi16ELN6hipcub16HIPCUB_304000_NS18BlockScanAlgorithmE0EEvPKiPi
    .private_segment_fixed_size: 0
    .sgpr_count:     6
    .sgpr_spill_count: 0
    .symbol:         _Z20BlockPrefixSumKernelILi64ELi16ELN6hipcub16HIPCUB_304000_NS18BlockScanAlgorithmE0EEvPKiPi.kd
    .uniform_work_group_size: 1
    .uses_dynamic_stack: false
    .vgpr_count:     42
    .vgpr_spill_count: 0
    .wavefront_size: 32
amdhsa.target:   amdgcn-amd-amdhsa--gfx1250
amdhsa.version:
  - 1
  - 2
...

	.end_amdgpu_metadata
